;; amdgpu-corpus repo=ROCm/rocFFT kind=compiled arch=gfx1201 opt=O3
	.text
	.amdgcn_target "amdgcn-amd-amdhsa--gfx1201"
	.amdhsa_code_object_version 6
	.protected	fft_rtc_fwd_len2916_factors_6_6_3_3_3_3_wgs_243_tpt_243_halfLds_dp_op_CI_CI_unitstride_sbrr_R2C_dirReg ; -- Begin function fft_rtc_fwd_len2916_factors_6_6_3_3_3_3_wgs_243_tpt_243_halfLds_dp_op_CI_CI_unitstride_sbrr_R2C_dirReg
	.globl	fft_rtc_fwd_len2916_factors_6_6_3_3_3_3_wgs_243_tpt_243_halfLds_dp_op_CI_CI_unitstride_sbrr_R2C_dirReg
	.p2align	8
	.type	fft_rtc_fwd_len2916_factors_6_6_3_3_3_3_wgs_243_tpt_243_halfLds_dp_op_CI_CI_unitstride_sbrr_R2C_dirReg,@function
fft_rtc_fwd_len2916_factors_6_6_3_3_3_3_wgs_243_tpt_243_halfLds_dp_op_CI_CI_unitstride_sbrr_R2C_dirReg: ; @fft_rtc_fwd_len2916_factors_6_6_3_3_3_3_wgs_243_tpt_243_halfLds_dp_op_CI_CI_unitstride_sbrr_R2C_dirReg
; %bb.0:
	s_clause 0x2
	s_load_b128 s[8:11], s[0:1], 0x0
	s_load_b128 s[4:7], s[0:1], 0x58
	;; [unrolled: 1-line block ×3, first 2 shown]
	v_mul_u32_u24_e32 v1, 0x10e, v0
	v_mov_b32_e32 v3, 0
	s_delay_alu instid0(VALU_DEP_2) | instskip(NEXT) | instid1(VALU_DEP_1)
	v_lshrrev_b32_e32 v1, 16, v1
	v_add_nc_u32_e32 v5, ttmp9, v1
	v_mov_b32_e32 v1, 0
	v_mov_b32_e32 v2, 0
	;; [unrolled: 1-line block ×3, first 2 shown]
	s_wait_kmcnt 0x0
	v_cmp_lt_u64_e64 s2, s[10:11], 2
	s_delay_alu instid0(VALU_DEP_1)
	s_and_b32 vcc_lo, exec_lo, s2
	s_cbranch_vccnz .LBB0_8
; %bb.1:
	s_load_b64 s[2:3], s[0:1], 0x10
	v_mov_b32_e32 v1, 0
	v_mov_b32_e32 v2, 0
	s_add_nc_u64 s[16:17], s[14:15], 8
	s_add_nc_u64 s[18:19], s[12:13], 8
	s_mov_b64 s[20:21], 1
	s_delay_alu instid0(VALU_DEP_1)
	v_dual_mov_b32 v9, v2 :: v_dual_mov_b32 v8, v1
	s_wait_kmcnt 0x0
	s_add_nc_u64 s[22:23], s[2:3], 8
	s_mov_b32 s3, 0
.LBB0_2:                                ; =>This Inner Loop Header: Depth=1
	s_load_b64 s[24:25], s[22:23], 0x0
                                        ; implicit-def: $vgpr14_vgpr15
	s_mov_b32 s2, exec_lo
	s_wait_kmcnt 0x0
	v_or_b32_e32 v4, s25, v6
	s_delay_alu instid0(VALU_DEP_1)
	v_cmpx_ne_u64_e32 0, v[3:4]
	s_wait_alu 0xfffe
	s_xor_b32 s26, exec_lo, s2
	s_cbranch_execz .LBB0_4
; %bb.3:                                ;   in Loop: Header=BB0_2 Depth=1
	s_cvt_f32_u32 s2, s24
	s_cvt_f32_u32 s27, s25
	s_sub_nc_u64 s[30:31], 0, s[24:25]
	s_wait_alu 0xfffe
	s_delay_alu instid0(SALU_CYCLE_1) | instskip(SKIP_1) | instid1(SALU_CYCLE_2)
	s_fmamk_f32 s2, s27, 0x4f800000, s2
	s_wait_alu 0xfffe
	v_s_rcp_f32 s2, s2
	s_delay_alu instid0(TRANS32_DEP_1) | instskip(SKIP_1) | instid1(SALU_CYCLE_2)
	s_mul_f32 s2, s2, 0x5f7ffffc
	s_wait_alu 0xfffe
	s_mul_f32 s27, s2, 0x2f800000
	s_wait_alu 0xfffe
	s_delay_alu instid0(SALU_CYCLE_2) | instskip(SKIP_1) | instid1(SALU_CYCLE_2)
	s_trunc_f32 s27, s27
	s_wait_alu 0xfffe
	s_fmamk_f32 s2, s27, 0xcf800000, s2
	s_cvt_u32_f32 s29, s27
	s_wait_alu 0xfffe
	s_delay_alu instid0(SALU_CYCLE_1) | instskip(SKIP_1) | instid1(SALU_CYCLE_2)
	s_cvt_u32_f32 s28, s2
	s_wait_alu 0xfffe
	s_mul_u64 s[34:35], s[30:31], s[28:29]
	s_wait_alu 0xfffe
	s_mul_hi_u32 s37, s28, s35
	s_mul_i32 s36, s28, s35
	s_mul_hi_u32 s2, s28, s34
	s_mul_i32 s33, s29, s34
	s_wait_alu 0xfffe
	s_add_nc_u64 s[36:37], s[2:3], s[36:37]
	s_mul_hi_u32 s27, s29, s34
	s_mul_hi_u32 s38, s29, s35
	s_add_co_u32 s2, s36, s33
	s_wait_alu 0xfffe
	s_add_co_ci_u32 s2, s37, s27
	s_mul_i32 s34, s29, s35
	s_add_co_ci_u32 s35, s38, 0
	s_wait_alu 0xfffe
	s_add_nc_u64 s[34:35], s[2:3], s[34:35]
	s_wait_alu 0xfffe
	v_add_co_u32 v4, s2, s28, s34
	s_delay_alu instid0(VALU_DEP_1) | instskip(SKIP_1) | instid1(VALU_DEP_1)
	s_cmp_lg_u32 s2, 0
	s_add_co_ci_u32 s29, s29, s35
	v_readfirstlane_b32 s28, v4
	s_wait_alu 0xfffe
	s_delay_alu instid0(VALU_DEP_1)
	s_mul_u64 s[30:31], s[30:31], s[28:29]
	s_wait_alu 0xfffe
	s_mul_hi_u32 s35, s28, s31
	s_mul_i32 s34, s28, s31
	s_mul_hi_u32 s2, s28, s30
	s_mul_i32 s33, s29, s30
	s_wait_alu 0xfffe
	s_add_nc_u64 s[34:35], s[2:3], s[34:35]
	s_mul_hi_u32 s27, s29, s30
	s_mul_hi_u32 s28, s29, s31
	s_wait_alu 0xfffe
	s_add_co_u32 s2, s34, s33
	s_add_co_ci_u32 s2, s35, s27
	s_mul_i32 s30, s29, s31
	s_add_co_ci_u32 s31, s28, 0
	s_wait_alu 0xfffe
	s_add_nc_u64 s[30:31], s[2:3], s[30:31]
	s_wait_alu 0xfffe
	v_add_co_u32 v4, s2, v4, s30
	s_delay_alu instid0(VALU_DEP_1) | instskip(SKIP_1) | instid1(VALU_DEP_1)
	s_cmp_lg_u32 s2, 0
	s_add_co_ci_u32 s2, s29, s31
	v_mul_hi_u32 v7, v5, v4
	s_wait_alu 0xfffe
	v_mad_co_u64_u32 v[10:11], null, v5, s2, 0
	v_mad_co_u64_u32 v[12:13], null, v6, v4, 0
	;; [unrolled: 1-line block ×3, first 2 shown]
	s_delay_alu instid0(VALU_DEP_3) | instskip(SKIP_1) | instid1(VALU_DEP_4)
	v_add_co_u32 v4, vcc_lo, v7, v10
	s_wait_alu 0xfffd
	v_add_co_ci_u32_e32 v7, vcc_lo, 0, v11, vcc_lo
	s_delay_alu instid0(VALU_DEP_2) | instskip(SKIP_1) | instid1(VALU_DEP_2)
	v_add_co_u32 v4, vcc_lo, v4, v12
	s_wait_alu 0xfffd
	v_add_co_ci_u32_e32 v4, vcc_lo, v7, v13, vcc_lo
	s_wait_alu 0xfffd
	v_add_co_ci_u32_e32 v7, vcc_lo, 0, v15, vcc_lo
	s_delay_alu instid0(VALU_DEP_2) | instskip(SKIP_1) | instid1(VALU_DEP_2)
	v_add_co_u32 v4, vcc_lo, v4, v14
	s_wait_alu 0xfffd
	v_add_co_ci_u32_e32 v7, vcc_lo, 0, v7, vcc_lo
	s_delay_alu instid0(VALU_DEP_2) | instskip(SKIP_1) | instid1(VALU_DEP_3)
	v_mul_lo_u32 v12, s25, v4
	v_mad_co_u64_u32 v[10:11], null, s24, v4, 0
	v_mul_lo_u32 v13, s24, v7
	s_delay_alu instid0(VALU_DEP_2) | instskip(NEXT) | instid1(VALU_DEP_2)
	v_sub_co_u32 v10, vcc_lo, v5, v10
	v_add3_u32 v11, v11, v13, v12
	s_delay_alu instid0(VALU_DEP_1) | instskip(SKIP_1) | instid1(VALU_DEP_1)
	v_sub_nc_u32_e32 v12, v6, v11
	s_wait_alu 0xfffd
	v_subrev_co_ci_u32_e64 v12, s2, s25, v12, vcc_lo
	v_add_co_u32 v13, s2, v4, 2
	s_wait_alu 0xf1ff
	v_add_co_ci_u32_e64 v14, s2, 0, v7, s2
	v_sub_co_u32 v15, s2, v10, s24
	v_sub_co_ci_u32_e32 v11, vcc_lo, v6, v11, vcc_lo
	s_wait_alu 0xf1ff
	v_subrev_co_ci_u32_e64 v12, s2, 0, v12, s2
	s_delay_alu instid0(VALU_DEP_3) | instskip(NEXT) | instid1(VALU_DEP_3)
	v_cmp_le_u32_e32 vcc_lo, s24, v15
	v_cmp_eq_u32_e64 s2, s25, v11
	s_wait_alu 0xfffd
	v_cndmask_b32_e64 v15, 0, -1, vcc_lo
	v_cmp_le_u32_e32 vcc_lo, s25, v12
	s_wait_alu 0xfffd
	v_cndmask_b32_e64 v16, 0, -1, vcc_lo
	v_cmp_le_u32_e32 vcc_lo, s24, v10
	;; [unrolled: 3-line block ×3, first 2 shown]
	s_wait_alu 0xfffd
	v_cndmask_b32_e64 v17, 0, -1, vcc_lo
	v_cmp_eq_u32_e32 vcc_lo, s25, v12
	s_wait_alu 0xf1ff
	s_delay_alu instid0(VALU_DEP_2)
	v_cndmask_b32_e64 v10, v17, v10, s2
	s_wait_alu 0xfffd
	v_cndmask_b32_e32 v12, v16, v15, vcc_lo
	v_add_co_u32 v15, vcc_lo, v4, 1
	s_wait_alu 0xfffd
	v_add_co_ci_u32_e32 v16, vcc_lo, 0, v7, vcc_lo
	s_delay_alu instid0(VALU_DEP_3) | instskip(SKIP_1) | instid1(VALU_DEP_2)
	v_cmp_ne_u32_e32 vcc_lo, 0, v12
	s_wait_alu 0xfffd
	v_dual_cndmask_b32 v11, v16, v14 :: v_dual_cndmask_b32 v12, v15, v13
	v_cmp_ne_u32_e32 vcc_lo, 0, v10
	s_wait_alu 0xfffd
	s_delay_alu instid0(VALU_DEP_2)
	v_dual_cndmask_b32 v15, v7, v11 :: v_dual_cndmask_b32 v14, v4, v12
.LBB0_4:                                ;   in Loop: Header=BB0_2 Depth=1
	s_wait_alu 0xfffe
	s_and_not1_saveexec_b32 s2, s26
	s_cbranch_execz .LBB0_6
; %bb.5:                                ;   in Loop: Header=BB0_2 Depth=1
	v_cvt_f32_u32_e32 v4, s24
	s_sub_co_i32 s26, 0, s24
	v_mov_b32_e32 v15, v3
	s_delay_alu instid0(VALU_DEP_2) | instskip(NEXT) | instid1(TRANS32_DEP_1)
	v_rcp_iflag_f32_e32 v4, v4
	v_mul_f32_e32 v4, 0x4f7ffffe, v4
	s_delay_alu instid0(VALU_DEP_1) | instskip(SKIP_1) | instid1(VALU_DEP_1)
	v_cvt_u32_f32_e32 v4, v4
	s_wait_alu 0xfffe
	v_mul_lo_u32 v7, s26, v4
	s_delay_alu instid0(VALU_DEP_1) | instskip(NEXT) | instid1(VALU_DEP_1)
	v_mul_hi_u32 v7, v4, v7
	v_add_nc_u32_e32 v4, v4, v7
	s_delay_alu instid0(VALU_DEP_1) | instskip(NEXT) | instid1(VALU_DEP_1)
	v_mul_hi_u32 v4, v5, v4
	v_mul_lo_u32 v7, v4, s24
	v_add_nc_u32_e32 v10, 1, v4
	s_delay_alu instid0(VALU_DEP_2) | instskip(NEXT) | instid1(VALU_DEP_1)
	v_sub_nc_u32_e32 v7, v5, v7
	v_subrev_nc_u32_e32 v11, s24, v7
	v_cmp_le_u32_e32 vcc_lo, s24, v7
	s_wait_alu 0xfffd
	s_delay_alu instid0(VALU_DEP_2) | instskip(NEXT) | instid1(VALU_DEP_1)
	v_dual_cndmask_b32 v7, v7, v11 :: v_dual_cndmask_b32 v4, v4, v10
	v_cmp_le_u32_e32 vcc_lo, s24, v7
	s_delay_alu instid0(VALU_DEP_2) | instskip(SKIP_1) | instid1(VALU_DEP_1)
	v_add_nc_u32_e32 v10, 1, v4
	s_wait_alu 0xfffd
	v_cndmask_b32_e32 v14, v4, v10, vcc_lo
.LBB0_6:                                ;   in Loop: Header=BB0_2 Depth=1
	s_wait_alu 0xfffe
	s_or_b32 exec_lo, exec_lo, s2
	v_mul_lo_u32 v4, v15, s24
	s_delay_alu instid0(VALU_DEP_2)
	v_mul_lo_u32 v7, v14, s25
	s_load_b64 s[26:27], s[18:19], 0x0
	v_mad_co_u64_u32 v[10:11], null, v14, s24, 0
	s_load_b64 s[24:25], s[16:17], 0x0
	s_add_nc_u64 s[20:21], s[20:21], 1
	s_add_nc_u64 s[16:17], s[16:17], 8
	s_wait_alu 0xfffe
	v_cmp_ge_u64_e64 s2, s[20:21], s[10:11]
	s_add_nc_u64 s[18:19], s[18:19], 8
	s_add_nc_u64 s[22:23], s[22:23], 8
	v_add3_u32 v4, v11, v7, v4
	v_sub_co_u32 v5, vcc_lo, v5, v10
	s_wait_alu 0xfffd
	s_delay_alu instid0(VALU_DEP_2) | instskip(SKIP_2) | instid1(VALU_DEP_1)
	v_sub_co_ci_u32_e32 v4, vcc_lo, v6, v4, vcc_lo
	s_and_b32 vcc_lo, exec_lo, s2
	s_wait_kmcnt 0x0
	v_mul_lo_u32 v6, s26, v4
	v_mul_lo_u32 v7, s27, v5
	v_mad_co_u64_u32 v[1:2], null, s26, v5, v[1:2]
	v_mul_lo_u32 v4, s24, v4
	v_mul_lo_u32 v10, s25, v5
	v_mad_co_u64_u32 v[8:9], null, s24, v5, v[8:9]
	s_delay_alu instid0(VALU_DEP_4) | instskip(NEXT) | instid1(VALU_DEP_2)
	v_add3_u32 v2, v7, v2, v6
	v_add3_u32 v9, v10, v9, v4
	s_wait_alu 0xfffe
	s_cbranch_vccnz .LBB0_9
; %bb.7:                                ;   in Loop: Header=BB0_2 Depth=1
	v_dual_mov_b32 v5, v14 :: v_dual_mov_b32 v6, v15
	s_branch .LBB0_2
.LBB0_8:
	v_dual_mov_b32 v9, v2 :: v_dual_mov_b32 v8, v1
	v_dual_mov_b32 v15, v6 :: v_dual_mov_b32 v14, v5
.LBB0_9:
	s_load_b64 s[0:1], s[0:1], 0x28
	v_mul_hi_u32 v3, 0x10db20b, v0
	s_lshl_b64 s[10:11], s[10:11], 3
                                        ; implicit-def: $vgpr10
                                        ; implicit-def: $vgpr12
                                        ; implicit-def: $vgpr17
                                        ; implicit-def: $vgpr16
	s_wait_kmcnt 0x0
	v_cmp_gt_u64_e32 vcc_lo, s[0:1], v[14:15]
	v_cmp_le_u64_e64 s0, s[0:1], v[14:15]
	s_delay_alu instid0(VALU_DEP_1)
	s_and_saveexec_b32 s1, s0
	s_wait_alu 0xfffe
	s_xor_b32 s0, exec_lo, s1
; %bb.10:
	v_mul_u32_u24_e32 v1, 0xf3, v3
                                        ; implicit-def: $vgpr3
	s_delay_alu instid0(VALU_DEP_1) | instskip(NEXT) | instid1(VALU_DEP_1)
	v_sub_nc_u32_e32 v10, v0, v1
                                        ; implicit-def: $vgpr0
                                        ; implicit-def: $vgpr1_vgpr2
	v_add_nc_u32_e32 v12, 0xf3, v10
	v_add_nc_u32_e32 v17, 0x1e6, v10
	;; [unrolled: 1-line block ×3, first 2 shown]
; %bb.11:
	s_wait_alu 0xfffe
	s_or_saveexec_b32 s1, s0
	s_add_nc_u64 s[2:3], s[14:15], s[10:11]
	s_wait_alu 0xfffe
	s_xor_b32 exec_lo, exec_lo, s1
	s_cbranch_execz .LBB0_13
; %bb.12:
	s_add_nc_u64 s[10:11], s[12:13], s[10:11]
	v_lshlrev_b64_e32 v[1:2], 4, v[1:2]
	s_load_b64 s[10:11], s[10:11], 0x0
	s_wait_kmcnt 0x0
	v_mul_lo_u32 v6, s11, v14
	v_mul_lo_u32 v7, s10, v15
	v_mad_co_u64_u32 v[4:5], null, s10, v14, 0
	s_delay_alu instid0(VALU_DEP_1) | instskip(SKIP_1) | instid1(VALU_DEP_2)
	v_add3_u32 v5, v5, v7, v6
	v_mul_u32_u24_e32 v6, 0xf3, v3
	v_lshlrev_b64_e32 v[3:4], 4, v[4:5]
	s_delay_alu instid0(VALU_DEP_2) | instskip(NEXT) | instid1(VALU_DEP_1)
	v_sub_nc_u32_e32 v10, v0, v6
	v_lshlrev_b32_e32 v13, 4, v10
	s_delay_alu instid0(VALU_DEP_3) | instskip(SKIP_1) | instid1(VALU_DEP_4)
	v_add_co_u32 v0, s0, s4, v3
	s_wait_alu 0xf1ff
	v_add_co_ci_u32_e64 v3, s0, s5, v4, s0
	v_add_nc_u32_e32 v17, 0x1e6, v10
	s_delay_alu instid0(VALU_DEP_3) | instskip(SKIP_1) | instid1(VALU_DEP_3)
	v_add_co_u32 v0, s0, v0, v1
	s_wait_alu 0xf1ff
	v_add_co_ci_u32_e64 v1, s0, v3, v2, s0
	v_add_nc_u32_e32 v16, 0x2d9, v10
	s_delay_alu instid0(VALU_DEP_3) | instskip(SKIP_1) | instid1(VALU_DEP_3)
	v_add_co_u32 v11, s0, v0, v13
	s_wait_alu 0xf1ff
	v_add_co_ci_u32_e64 v12, s0, 0, v1, s0
	s_clause 0xb
	global_load_b128 v[0:3], v[11:12], off offset:3888
	global_load_b128 v[4:7], v[11:12], off offset:7776
	;; [unrolled: 1-line block ×10, first 2 shown]
	global_load_b128 v[50:53], v[11:12], off
	global_load_b128 v[54:57], v[11:12], off offset:42768
	v_add_nc_u32_e32 v11, 0, v13
	v_add_nc_u32_e32 v12, 0xf3, v10
	s_wait_loadcnt 0xb
	ds_store_b128 v11, v[0:3] offset:3888
	s_wait_loadcnt 0xa
	ds_store_b128 v11, v[4:7] offset:7776
	;; [unrolled: 2-line block ×10, first 2 shown]
	s_wait_loadcnt 0x1
	ds_store_b128 v11, v[50:53]
	s_wait_loadcnt 0x0
	ds_store_b128 v11, v[54:57] offset:42768
.LBB0_13:
	s_or_b32 exec_lo, exec_lo, s1
	v_lshlrev_b32_e32 v0, 4, v10
	s_load_b64 s[2:3], s[2:3], 0x0
	global_wb scope:SCOPE_SE
	s_wait_dscnt 0x0
	s_wait_kmcnt 0x0
	s_barrier_signal -1
	s_barrier_wait -1
	v_add_nc_u32_e32 v25, 0, v0
	global_inv scope:SCOPE_SE
	s_mov_b32 s4, 0xe8584caa
	s_mov_b32 s5, 0x3febb67a
	;; [unrolled: 1-line block ×3, first 2 shown]
	ds_load_b128 v[1:4], v25 offset:23328
	ds_load_b128 v[18:21], v25 offset:38880
	;; [unrolled: 1-line block ×9, first 2 shown]
	s_wait_alu 0xfffe
	s_mov_b32 s10, s4
	v_mad_u32_u24 v13, 0x50, v10, v25
	s_mov_b32 s1, exec_lo
	s_wait_dscnt 0x7
	v_add_f64_e32 v[5:6], v[3:4], v[20:21]
	v_add_f64_e32 v[22:23], v[1:2], v[18:19]
	s_wait_dscnt 0x5
	v_add_f64_e32 v[54:55], v[28:29], v[32:33]
	v_add_f64_e32 v[56:57], v[26:27], v[30:31]
	v_add_f64_e64 v[62:63], v[3:4], -v[20:21]
	v_add_f64_e64 v[64:65], v[1:2], -v[18:19]
	;; [unrolled: 1-line block ×4, first 2 shown]
	s_wait_dscnt 0x3
	v_add_f64_e32 v[82:83], v[34:35], v[38:39]
	v_add_f64_e32 v[84:85], v[36:37], v[40:41]
	s_wait_dscnt 0x2
	v_add_f64_e32 v[1:2], v[42:43], v[1:2]
	v_add_f64_e32 v[3:4], v[44:45], v[3:4]
	;; [unrolled: 3-line block ×3, first 2 shown]
	v_fma_f64 v[5:6], v[5:6], -0.5, v[44:45]
	v_fma_f64 v[22:23], v[22:23], -0.5, v[42:43]
	;; [unrolled: 1-line block ×4, first 2 shown]
	ds_load_b128 v[54:57], v25 offset:15552
	ds_load_b128 v[58:61], v25 offset:31104
	s_wait_dscnt 0x2
	v_add_f64_e32 v[42:43], v[50:51], v[34:35]
	v_add_f64_e32 v[44:45], v[52:53], v[36:37]
	v_add_f64_e64 v[36:37], v[36:37], -v[40:41]
	v_fma_f64 v[50:51], v[82:83], -0.5, v[50:51]
	v_add_f64_e64 v[34:35], v[34:35], -v[38:39]
	v_fma_f64 v[52:53], v[84:85], -0.5, v[52:53]
	v_add_f64_e32 v[18:19], v[1:2], v[18:19]
	v_add_f64_e32 v[2:3], v[3:4], v[20:21]
	;; [unrolled: 1-line block ×3, first 2 shown]
	v_and_b32_e32 v1, 0xff, v10
	s_delay_alu instid0(VALU_DEP_1)
	v_mul_lo_u16 v11, 0xab, v1
	s_wait_dscnt 0x0
	v_add_f64_e32 v[74:75], v[54:55], v[58:59]
	v_add_f64_e32 v[76:77], v[56:57], v[60:61]
	v_add_f64_e64 v[48:49], v[54:55], -v[58:59]
	s_wait_alu 0xfffe
	v_fma_f64 v[78:79], v[64:65], s[10:11], v[5:6]
	v_fma_f64 v[80:81], v[62:63], s[10:11], v[22:23]
	v_fma_f64 v[22:23], v[62:63], s[4:5], v[22:23]
	v_fma_f64 v[5:6], v[64:65], s[4:5], v[5:6]
	v_fma_f64 v[86:87], v[68:69], s[10:11], v[70:71]
	v_fma_f64 v[88:89], v[66:67], s[10:11], v[72:73]
	v_fma_f64 v[66:67], v[66:67], s[4:5], v[72:73]
	v_fma_f64 v[68:69], v[68:69], s[4:5], v[70:71]
	ds_load_b128 v[62:65], v25
	v_add_f64_e64 v[72:73], v[56:57], -v[60:61]
	v_add_f64_e32 v[38:39], v[42:43], v[38:39]
	v_add_f64_e32 v[40:41], v[44:45], v[40:41]
	;; [unrolled: 1-line block ×3, first 2 shown]
	global_wb scope:SCOPE_SE
	s_wait_dscnt 0x0
	s_barrier_signal -1
	s_barrier_wait -1
	global_inv scope:SCOPE_SE
	v_add_f64_e32 v[70:71], v[62:63], v[54:55]
	v_add_f64_e32 v[56:57], v[64:65], v[56:57]
	v_fma_f64 v[46:47], v[74:75], -0.5, v[62:63]
	v_fma_f64 v[54:55], v[76:77], -0.5, v[64:65]
	v_mul_f64_e32 v[62:63], s[4:5], v[78:79]
	v_mul_f64_e32 v[64:65], -0.5, v[80:81]
	v_mul_f64_e32 v[74:75], s[10:11], v[22:23]
	v_mul_f64_e32 v[76:77], -0.5, v[5:6]
	;; [unrolled: 2-line block ×4, first 2 shown]
	v_add_f64_e32 v[28:29], v[38:39], v[26:27]
	v_add_f64_e64 v[32:33], v[38:39], -v[26:27]
	v_add_f64_e32 v[30:31], v[40:41], v[42:43]
	v_lshl_add_u32 v26, v17, 4, 0
	v_add_f64_e32 v[58:59], v[70:71], v[58:59]
	v_add_f64_e32 v[56:57], v[56:57], v[60:61]
	v_fma_f64 v[44:45], v[72:73], s[4:5], v[46:47]
	v_fma_f64 v[60:61], v[48:49], s[10:11], v[54:55]
	;; [unrolled: 1-line block ×6, first 2 shown]
	v_fma_f64 v[22:23], v[22:23], 0.5, v[62:63]
	v_fma_f64 v[48:49], v[5:6], s[4:5], v[64:65]
	v_fma_f64 v[62:63], v[78:79], 0.5, v[74:75]
	v_fma_f64 v[64:65], v[80:81], s[10:11], v[76:77]
	v_fma_f64 v[74:75], v[34:35], s[10:11], v[52:53]
	v_fma_f64 v[66:67], v[66:67], 0.5, v[82:83]
	v_fma_f64 v[78:79], v[86:87], 0.5, v[90:91]
	v_fma_f64 v[76:77], v[34:35], s[4:5], v[52:53]
	v_fma_f64 v[68:69], v[68:69], s[4:5], v[84:85]
	v_fma_f64 v[80:81], v[88:89], s[10:11], v[92:93]
	v_add_f64_e64 v[34:35], v[40:41], -v[42:43]
	v_add_f64_e32 v[4:5], v[58:59], v[18:19]
	v_add_f64_e32 v[6:7], v[56:57], v[2:3]
	v_add_f64_e64 v[18:19], v[58:59], -v[18:19]
	v_add_f64_e64 v[20:21], v[56:57], -v[2:3]
	v_lshrrev_b16 v3, 10, v11
	v_mul_i32_i24_e32 v11, 6, v12
	s_delay_alu instid0(VALU_DEP_2)
	v_mul_lo_u16 v2, v3, 6
	v_add_f64_e32 v[36:37], v[44:45], v[22:23]
	v_add_f64_e32 v[40:41], v[46:47], v[48:49]
	;; [unrolled: 1-line block ×4, first 2 shown]
	v_add_f64_e64 v[44:45], v[44:45], -v[22:23]
	v_add_f64_e64 v[48:49], v[46:47], -v[48:49]
	;; [unrolled: 1-line block ×4, first 2 shown]
	v_add_f64_e32 v[52:53], v[70:71], v[66:67]
	v_add_f64_e32 v[54:55], v[74:75], v[78:79]
	v_add_f64_e32 v[56:57], v[72:73], v[68:69]
	v_add_f64_e32 v[58:59], v[76:77], v[80:81]
	v_add_f64_e64 v[60:61], v[70:71], -v[66:67]
	v_add_f64_e64 v[62:63], v[74:75], -v[78:79]
	;; [unrolled: 1-line block ×4, first 2 shown]
	v_sub_nc_u16 v2, v10, v2
	v_lshl_add_u32 v27, v11, 4, 0
	v_and_b32_e32 v3, 0xffff, v3
	ds_store_b128 v13, v[4:7]
	ds_store_b128 v13, v[36:39] offset:16
	ds_store_b128 v13, v[40:43] offset:32
	;; [unrolled: 1-line block ×5, first 2 shown]
	ds_store_b128 v27, v[28:31]
	ds_store_b128 v27, v[52:55] offset:16
	ds_store_b128 v27, v[56:59] offset:32
	;; [unrolled: 1-line block ×5, first 2 shown]
	v_and_b32_e32 v2, 0xff, v2
	global_wb scope:SCOPE_SE
	s_wait_dscnt 0x0
	s_barrier_signal -1
	s_barrier_wait -1
	global_inv scope:SCOPE_SE
	v_mul_u32_u24_e32 v11, 5, v2
	v_and_b32_e32 v6, 0xffff, v12
	v_mad_i32_i24 v5, 0xffffffb0, v12, v27
	v_lshlrev_b32_e32 v2, 4, v2
	s_delay_alu instid0(VALU_DEP_4)
	v_lshlrev_b32_e32 v22, 4, v11
	s_clause 0x2
	global_load_b128 v[18:21], v22, s[8:9]
	global_load_b128 v[28:31], v22, s[8:9] offset:16
	global_load_b128 v[32:35], v22, s[8:9] offset:32
	v_mul_u32_u24_e32 v4, 0xaaab, v6
	global_load_b128 v[36:39], v22, s[8:9] offset:64
	v_lshrrev_b32_e32 v11, 18, v4
	s_delay_alu instid0(VALU_DEP_1) | instskip(SKIP_1) | instid1(VALU_DEP_2)
	v_mul_lo_u16 v4, v11, 6
	v_mul_u32_u24_e32 v11, 0x240, v11
	v_sub_nc_u16 v4, v12, v4
	s_delay_alu instid0(VALU_DEP_1) | instskip(NEXT) | instid1(VALU_DEP_1)
	v_and_b32_e32 v7, 0xffff, v4
	v_mul_u32_u24_e32 v4, 5, v7
	v_lshlrev_b32_e32 v7, 4, v7
	s_delay_alu instid0(VALU_DEP_2)
	v_lshlrev_b32_e32 v4, 4, v4
	s_clause 0x5
	global_load_b128 v[40:43], v4, s[8:9] offset:32
	global_load_b128 v[44:47], v4, s[8:9] offset:64
	;; [unrolled: 1-line block ×3, first 2 shown]
	global_load_b128 v[52:55], v4, s[8:9]
	global_load_b128 v[56:59], v4, s[8:9] offset:16
	global_load_b128 v[60:63], v4, s[8:9] offset:48
	ds_load_b128 v[64:67], v26
	ds_load_b128 v[68:71], v5
	v_mul_lo_u16 v4, v1, 57
	v_add3_u32 v7, 0, v11, v7
	v_mul_lo_u16 v1, v1, 19
	s_delay_alu instid0(VALU_DEP_3) | instskip(NEXT) | instid1(VALU_DEP_1)
	v_lshrrev_b16 v4, 11, v4
	v_mul_lo_u16 v13, v4, 36
	v_and_b32_e32 v4, 0xffff, v4
	s_delay_alu instid0(VALU_DEP_2)
	v_sub_nc_u16 v13, v10, v13
	s_wait_loadcnt_dscnt 0x901
	v_mul_f64_e32 v[84:85], v[66:67], v[20:21]
	v_mul_f64_e32 v[86:87], v[64:65], v[20:21]
	ds_load_b128 v[20:23], v25 offset:15552
	ds_load_b128 v[72:75], v25 offset:23328
	;; [unrolled: 1-line block ×4, first 2 shown]
	s_wait_loadcnt_dscnt 0x803
	v_mul_f64_e32 v[88:89], v[22:23], v[30:31]
	v_mul_f64_e32 v[30:31], v[20:21], v[30:31]
	s_wait_loadcnt_dscnt 0x702
	v_mul_f64_e32 v[90:91], v[74:75], v[34:35]
	v_mul_f64_e32 v[34:35], v[72:73], v[34:35]
	v_fma_f64 v[84:85], v[64:65], v[18:19], -v[84:85]
	v_fma_f64 v[86:87], v[66:67], v[18:19], v[86:87]
	ds_load_b128 v[64:67], v25 offset:38880
	v_fma_f64 v[88:89], v[20:21], v[28:29], -v[88:89]
	ds_load_b128 v[18:21], v25 offset:34992
	v_fma_f64 v[22:23], v[22:23], v[28:29], v[30:31]
	ds_load_b128 v[28:31], v25 offset:27216
	s_wait_loadcnt_dscnt 0x602
	v_mul_f64_e32 v[92:93], v[66:67], v[38:39]
	v_mul_f64_e32 v[38:39], v[64:65], v[38:39]
	v_fma_f64 v[72:73], v[72:73], v[32:33], -v[90:91]
	v_fma_f64 v[74:75], v[74:75], v[32:33], v[34:35]
	ds_load_b128 v[32:35], v25 offset:42768
	s_wait_loadcnt_dscnt 0x501
	v_mul_f64_e32 v[90:91], v[30:31], v[42:43]
	v_mul_f64_e32 v[42:43], v[28:29], v[42:43]
	v_fma_f64 v[64:65], v[64:65], v[36:37], -v[92:93]
	v_fma_f64 v[36:37], v[66:67], v[36:37], v[38:39]
	s_delay_alu instid0(VALU_DEP_4) | instskip(NEXT) | instid1(VALU_DEP_4)
	v_fma_f64 v[66:67], v[28:29], v[40:41], -v[90:91]
	v_fma_f64 v[40:41], v[30:31], v[40:41], v[42:43]
	ds_load_b128 v[28:31], v25 offset:31104
	s_wait_loadcnt_dscnt 0x300
	v_mul_f64_e32 v[42:43], v[30:31], v[50:51]
	v_mul_f64_e32 v[50:51], v[28:29], v[50:51]
	s_delay_alu instid0(VALU_DEP_2) | instskip(SKIP_3) | instid1(VALU_DEP_4)
	v_fma_f64 v[28:29], v[28:29], v[48:49], -v[42:43]
	s_wait_loadcnt 0x0
	v_mul_f64_e32 v[42:43], v[20:21], v[62:63]
	v_mul_f64_e32 v[62:63], v[18:19], v[62:63]
	v_fma_f64 v[30:31], v[30:31], v[48:49], v[50:51]
	v_add_f64_e32 v[48:49], v[72:73], v[64:65]
	v_add_f64_e32 v[50:51], v[74:75], v[36:37]
	v_fma_f64 v[42:43], v[18:19], v[60:61], -v[42:43]
	v_fma_f64 v[60:61], v[20:21], v[60:61], v[62:63]
	ds_load_b128 v[18:21], v25
	v_mul_f64_e32 v[38:39], v[34:35], v[46:47]
	v_mul_f64_e32 v[46:47], v[32:33], v[46:47]
	v_fma_f64 v[48:49], v[48:49], -0.5, v[84:85]
	v_fma_f64 v[50:51], v[50:51], -0.5, v[86:87]
	v_add_f64_e32 v[92:93], v[22:23], v[30:31]
	global_wb scope:SCOPE_SE
	s_wait_dscnt 0x0
	s_barrier_signal -1
	s_barrier_wait -1
	global_inv scope:SCOPE_SE
	v_add_f64_e32 v[62:63], v[18:19], v[88:89]
	v_add_f64_e32 v[90:91], v[20:21], v[22:23]
	v_add_f64_e64 v[22:23], v[22:23], -v[30:31]
	v_fma_f64 v[32:33], v[32:33], v[44:45], -v[38:39]
	v_fma_f64 v[34:35], v[34:35], v[44:45], v[46:47]
	v_mul_f64_e32 v[38:39], v[78:79], v[54:55]
	v_mul_f64_e32 v[44:45], v[76:77], v[54:55]
	;; [unrolled: 1-line block ×4, first 2 shown]
	v_fma_f64 v[20:21], v[92:93], -0.5, v[20:21]
	v_add_f64_e32 v[30:31], v[90:91], v[30:31]
	v_add_f64_e32 v[58:59], v[66:67], v[32:33]
	v_fma_f64 v[38:39], v[76:77], v[52:53], -v[38:39]
	v_fma_f64 v[44:45], v[78:79], v[52:53], v[44:45]
	v_add_f64_e32 v[52:53], v[40:41], v[34:35]
	v_fma_f64 v[46:47], v[80:81], v[56:57], -v[46:47]
	v_fma_f64 v[54:55], v[82:83], v[56:57], v[54:55]
	v_add_f64_e64 v[56:57], v[74:75], -v[36:37]
	v_add_f64_e64 v[76:77], v[72:73], -v[64:65]
	;; [unrolled: 1-line block ×4, first 2 shown]
	v_add_f64_e32 v[82:83], v[88:89], v[28:29]
	v_add_f64_e32 v[74:75], v[86:87], v[74:75]
	;; [unrolled: 1-line block ×3, first 2 shown]
	v_add_f64_e64 v[88:89], v[88:89], -v[28:29]
	v_add_f64_e32 v[28:29], v[62:63], v[28:29]
	v_fma_f64 v[58:59], v[58:59], -0.5, v[38:39]
	v_add_f64_e32 v[38:39], v[38:39], v[66:67]
	v_fma_f64 v[52:53], v[52:53], -0.5, v[44:45]
	v_add_f64_e32 v[84:85], v[46:47], v[42:43]
	v_add_f64_e32 v[66:67], v[68:69], v[46:47]
	v_fma_f64 v[86:87], v[56:57], s[4:5], v[48:49]
	v_fma_f64 v[48:49], v[56:57], s[10:11], v[48:49]
	;; [unrolled: 1-line block ×4, first 2 shown]
	v_add_f64_e32 v[40:41], v[44:45], v[40:41]
	v_add_f64_e32 v[44:45], v[70:71], v[54:55]
	v_fma_f64 v[18:19], v[82:83], -0.5, v[18:19]
	v_add_f64_e64 v[46:47], v[46:47], -v[42:43]
	v_add_f64_e32 v[64:65], v[72:73], v[64:65]
	v_add_f64_e32 v[36:37], v[74:75], v[36:37]
	v_fma_f64 v[76:77], v[78:79], s[4:5], v[58:59]
	v_fma_f64 v[58:59], v[78:79], s[10:11], v[58:59]
	;; [unrolled: 1-line block ×4, first 2 shown]
	v_add_f64_e32 v[80:81], v[54:55], v[60:61]
	v_mul_f64_e32 v[90:91], s[10:11], v[86:87]
	v_mul_f64_e32 v[82:83], -0.5, v[48:49]
	v_mul_f64_e32 v[62:63], s[4:5], v[56:57]
	v_mul_f64_e32 v[92:93], -0.5, v[50:51]
	v_add_f64_e64 v[54:55], v[54:55], -v[60:61]
	v_fma_f64 v[68:69], v[84:85], -0.5, v[68:69]
	v_add_f64_e32 v[42:43], v[66:67], v[42:43]
	v_add_f64_e32 v[44:45], v[44:45], v[60:61]
	;; [unrolled: 1-line block ×4, first 2 shown]
	v_fma_f64 v[60:61], v[22:23], s[4:5], v[18:19]
	v_fma_f64 v[66:67], v[88:89], s[10:11], v[20:21]
	v_fma_f64 v[22:23], v[22:23], s[10:11], v[18:19]
	v_fma_f64 v[88:89], v[88:89], s[4:5], v[20:21]
	v_add_f64_e32 v[18:19], v[28:29], v[64:65]
	v_add_f64_e32 v[20:21], v[30:31], v[36:37]
	v_add_f64_e64 v[30:31], v[30:31], -v[36:37]
	v_add_f64_e64 v[28:29], v[28:29], -v[64:65]
	v_mul_f64_e32 v[74:75], -0.5, v[58:59]
	v_mul_f64_e32 v[72:73], s[4:5], v[78:79]
	v_mul_f64_e32 v[84:85], -0.5, v[52:53]
	v_fma_f64 v[70:71], v[80:81], -0.5, v[70:71]
	v_mul_f64_e32 v[80:81], s[10:11], v[76:77]
	v_fma_f64 v[56:57], v[56:57], 0.5, v[90:91]
	v_fma_f64 v[62:63], v[86:87], 0.5, v[62:63]
	v_fma_f64 v[50:51], v[50:51], s[4:5], v[82:83]
	v_fma_f64 v[82:83], v[48:49], s[10:11], v[92:93]
	;; [unrolled: 1-line block ×4, first 2 shown]
	v_add_f64_e32 v[32:33], v[42:43], v[38:39]
	v_add_f64_e32 v[34:35], v[44:45], v[40:41]
	v_add_f64_e64 v[36:37], v[42:43], -v[38:39]
	v_add_f64_e64 v[38:39], v[44:45], -v[40:41]
	v_fma_f64 v[74:75], v[52:53], s[4:5], v[74:75]
	v_fma_f64 v[72:73], v[76:77], 0.5, v[72:73]
	v_fma_f64 v[90:91], v[46:47], s[10:11], v[70:71]
	v_fma_f64 v[76:77], v[78:79], 0.5, v[80:81]
	v_fma_f64 v[70:71], v[46:47], s[4:5], v[70:71]
	v_fma_f64 v[78:79], v[58:59], s[10:11], v[84:85]
	v_add_f64_e32 v[40:41], v[60:61], v[62:63]
	v_add_f64_e32 v[42:43], v[66:67], v[56:57]
	;; [unrolled: 1-line block ×4, first 2 shown]
	v_add_f64_e64 v[48:49], v[60:61], -v[62:63]
	v_add_f64_e64 v[52:53], v[22:23], -v[50:51]
	v_add_f64_e64 v[50:51], v[66:67], -v[56:57]
	v_add_f64_e64 v[54:55], v[88:89], -v[82:83]
	v_mul_u32_u24_e32 v22, 0x240, v3
	v_and_b32_e32 v3, 0xff, v13
	s_delay_alu instid0(VALU_DEP_2) | instskip(NEXT) | instid1(VALU_DEP_2)
	v_add3_u32 v2, 0, v22, v2
	v_lshlrev_b32_e32 v13, 5, v3
	v_add_f64_e32 v[60:61], v[68:69], v[74:75]
	v_add_f64_e32 v[56:57], v[86:87], v[72:73]
	v_add_f64_e64 v[64:65], v[86:87], -v[72:73]
	v_add_f64_e64 v[68:69], v[68:69], -v[74:75]
	v_add_f64_e32 v[58:59], v[90:91], v[76:77]
	v_add_f64_e64 v[66:67], v[90:91], -v[76:77]
	v_add_f64_e32 v[62:63], v[70:71], v[78:79]
	v_add_f64_e64 v[70:71], v[70:71], -v[78:79]
	ds_store_b128 v2, v[18:21]
	ds_store_b128 v2, v[40:43] offset:96
	ds_store_b128 v2, v[44:47] offset:192
	ds_store_b128 v2, v[28:31] offset:288
	ds_store_b128 v2, v[48:51] offset:384
	ds_store_b128 v2, v[52:55] offset:480
	ds_store_b128 v7, v[32:35]
	ds_store_b128 v7, v[56:59] offset:96
	ds_store_b128 v7, v[60:63] offset:192
	;; [unrolled: 1-line block ×5, first 2 shown]
	global_wb scope:SCOPE_SE
	s_wait_dscnt 0x0
	s_barrier_signal -1
	s_barrier_wait -1
	global_inv scope:SCOPE_SE
	s_clause 0x1
	global_load_b128 v[18:21], v13, s[8:9] offset:480
	global_load_b128 v[28:31], v13, s[8:9] offset:496
	v_mul_u32_u24_e32 v2, 0xe38f, v6
	v_and_b32_e32 v6, 0xffff, v17
	s_delay_alu instid0(VALU_DEP_2) | instskip(NEXT) | instid1(VALU_DEP_2)
	v_lshrrev_b32_e32 v11, 21, v2
	v_mul_u32_u24_e32 v13, 0xe38f, v6
	s_delay_alu instid0(VALU_DEP_2) | instskip(NEXT) | instid1(VALU_DEP_2)
	v_mul_lo_u16 v2, v11, 36
	v_lshrrev_b32_e32 v24, 21, v13
	s_delay_alu instid0(VALU_DEP_2) | instskip(NEXT) | instid1(VALU_DEP_2)
	v_sub_nc_u16 v2, v12, v2
	v_mul_lo_u16 v22, v24, 36
	v_mul_u32_u24_e32 v24, 0x6c0, v24
	s_delay_alu instid0(VALU_DEP_3) | instskip(NEXT) | instid1(VALU_DEP_1)
	v_and_b32_e32 v2, 0xffff, v2
	v_lshlrev_b32_e32 v7, 5, v2
	v_lshlrev_b32_e32 v2, 4, v2
	s_clause 0x1
	global_load_b128 v[32:35], v7, s[8:9] offset:480
	global_load_b128 v[36:39], v7, s[8:9] offset:496
	v_and_b32_e32 v7, 0xffff, v16
	s_delay_alu instid0(VALU_DEP_1) | instskip(SKIP_1) | instid1(VALU_DEP_2)
	v_mul_u32_u24_e32 v13, 0xe38f, v7
	v_mul_u32_u24_e32 v7, 0x6523, v7
	v_lshrrev_b32_e32 v102, 21, v13
	v_sub_nc_u16 v13, v17, v22
	s_delay_alu instid0(VALU_DEP_2) | instskip(NEXT) | instid1(VALU_DEP_2)
	v_mul_lo_u16 v22, v102, 36
	v_and_b32_e32 v103, 0xffff, v13
	s_delay_alu instid0(VALU_DEP_2) | instskip(NEXT) | instid1(VALU_DEP_2)
	v_sub_nc_u16 v13, v16, v22
	v_lshlrev_b32_e32 v22, 5, v103
	s_delay_alu instid0(VALU_DEP_2)
	v_and_b32_e32 v104, 0xffff, v13
	global_load_b128 v[40:43], v22, s[8:9] offset:480
	v_lshlrev_b32_e32 v13, 5, v104
	s_clause 0x2
	global_load_b128 v[44:47], v22, s[8:9] offset:496
	global_load_b128 v[48:51], v13, s[8:9] offset:480
	;; [unrolled: 1-line block ×3, first 2 shown]
	ds_load_b128 v[56:59], v25 offset:15552
	ds_load_b128 v[60:63], v25 offset:19440
	;; [unrolled: 1-line block ×5, first 2 shown]
	v_lshrrev_b16 v13, 2, v12
	s_delay_alu instid0(VALU_DEP_1) | instskip(SKIP_1) | instid1(VALU_DEP_1)
	v_and_b32_e32 v105, 0xffff, v13
	v_lshrrev_b16 v13, 11, v1
	v_mul_lo_u16 v1, 0x6c, v13
	v_and_b32_e32 v13, 0xffff, v13
	s_delay_alu instid0(VALU_DEP_2)
	v_sub_nc_u16 v1, v10, v1
	s_wait_loadcnt_dscnt 0x704
	v_mul_f64_e32 v[76:77], v[58:59], v[20:21]
	v_mul_f64_e32 v[78:79], v[56:57], v[20:21]
	s_wait_loadcnt_dscnt 0x602
	v_mul_f64_e32 v[80:81], v[66:67], v[30:31]
	v_mul_f64_e32 v[30:31], v[64:65], v[30:31]
	ds_load_b128 v[20:23], v26
	s_wait_loadcnt 0x5
	v_mul_f64_e32 v[82:83], v[62:63], v[34:35]
	v_mul_f64_e32 v[34:35], v[60:61], v[34:35]
	v_fma_f64 v[76:77], v[56:57], v[18:19], -v[76:77]
	v_fma_f64 v[18:19], v[58:59], v[18:19], v[78:79]
	ds_load_b128 v[56:59], v25 offset:23328
	s_wait_loadcnt_dscnt 0x403
	v_mul_f64_e32 v[78:79], v[70:71], v[38:39]
	v_mul_f64_e32 v[38:39], v[68:69], v[38:39]
	v_fma_f64 v[80:81], v[64:65], v[28:29], -v[80:81]
	v_fma_f64 v[84:85], v[66:67], v[28:29], v[30:31]
	ds_load_b128 v[28:31], v25 offset:27216
	ds_load_b128 v[64:67], v25 offset:42768
	v_fma_f64 v[60:61], v[60:61], v[32:33], -v[82:83]
	v_fma_f64 v[62:63], v[62:63], v[32:33], v[34:35]
	s_wait_loadcnt_dscnt 0x302
	v_mul_f64_e32 v[32:33], v[58:59], v[42:43]
	v_mul_f64_e32 v[34:35], v[56:57], v[42:43]
	s_wait_loadcnt 0x2
	v_mul_f64_e32 v[42:43], v[74:75], v[46:47]
	v_mul_f64_e32 v[46:47], v[72:73], v[46:47]
	v_fma_f64 v[68:69], v[68:69], v[36:37], -v[78:79]
	v_fma_f64 v[70:71], v[70:71], v[36:37], v[38:39]
	s_wait_loadcnt_dscnt 0x101
	v_mul_f64_e32 v[36:37], v[30:31], v[50:51]
	v_mul_f64_e32 v[38:39], v[28:29], v[50:51]
	s_wait_loadcnt_dscnt 0x0
	v_mul_f64_e32 v[50:51], v[66:67], v[54:55]
	v_mul_f64_e32 v[54:55], v[64:65], v[54:55]
	v_add_f64_e64 v[92:93], v[18:19], -v[84:85]
	v_fma_f64 v[56:57], v[56:57], v[40:41], -v[32:33]
	v_fma_f64 v[58:59], v[58:59], v[40:41], v[34:35]
	v_fma_f64 v[41:42], v[72:73], v[44:45], -v[42:43]
	v_fma_f64 v[43:44], v[74:75], v[44:45], v[46:47]
	v_add_f64_e32 v[72:73], v[62:63], v[70:71]
	v_fma_f64 v[45:46], v[28:29], v[48:49], -v[36:37]
	v_fma_f64 v[47:48], v[30:31], v[48:49], v[38:39]
	v_fma_f64 v[49:50], v[64:65], v[52:53], -v[50:51]
	v_fma_f64 v[51:52], v[66:67], v[52:53], v[54:55]
	v_add_f64_e32 v[53:54], v[76:77], v[80:81]
	v_add_f64_e32 v[64:65], v[18:19], v[84:85]
	;; [unrolled: 1-line block ×3, first 2 shown]
	v_lshl_add_u32 v28, v16, 4, 0
	ds_load_b128 v[29:32], v25
	ds_load_b128 v[33:36], v5
	;; [unrolled: 1-line block ×3, first 2 shown]
	global_wb scope:SCOPE_SE
	s_wait_dscnt 0x0
	s_barrier_signal -1
	s_barrier_wait -1
	global_inv scope:SCOPE_SE
	v_add_f64_e32 v[88:89], v[29:30], v[76:77]
	v_add_f64_e64 v[76:77], v[76:77], -v[80:81]
	v_add_f64_e32 v[74:75], v[56:57], v[41:42]
	v_add_f64_e32 v[78:79], v[58:59], v[43:44]
	v_add_f64_e64 v[94:95], v[58:59], -v[43:44]
	v_add_f64_e64 v[96:97], v[56:57], -v[41:42]
	v_fma_f64 v[72:73], v[72:73], -0.5, v[35:36]
	v_add_f64_e32 v[90:91], v[37:38], v[45:46]
	v_add_f64_e32 v[82:83], v[45:46], v[49:50]
	;; [unrolled: 1-line block ×3, first 2 shown]
	v_fma_f64 v[53:54], v[53:54], -0.5, v[29:30]
	v_add_f64_e32 v[29:30], v[31:32], v[18:19]
	v_fma_f64 v[64:65], v[64:65], -0.5, v[31:32]
	v_add_f64_e32 v[31:32], v[33:34], v[60:61]
	;; [unrolled: 2-line block ×3, first 2 shown]
	v_add_f64_e32 v[35:36], v[20:21], v[56:57]
	v_add_f64_e64 v[62:63], v[62:63], -v[70:71]
	v_add_f64_e64 v[60:61], v[60:61], -v[68:69]
	;; [unrolled: 1-line block ×4, first 2 shown]
	v_add_f64_e32 v[18:19], v[88:89], v[80:81]
	v_fma_f64 v[74:75], v[74:75], -0.5, v[20:21]
	v_fma_f64 v[78:79], v[78:79], -0.5, v[22:23]
	v_add_f64_e32 v[22:23], v[22:23], v[58:59]
	v_fma_f64 v[82:83], v[82:83], -0.5, v[37:38]
	v_fma_f64 v[86:87], v[86:87], -0.5, v[39:40]
	v_add_f64_e32 v[39:40], v[39:40], v[47:48]
	v_add_f64_e32 v[20:21], v[29:30], v[84:85]
	v_fma_f64 v[45:46], v[92:93], s[10:11], v[53:54]
	v_add_f64_e32 v[29:30], v[31:32], v[68:69]
	v_fma_f64 v[47:48], v[76:77], s[4:5], v[64:65]
	v_add_f64_e32 v[31:32], v[33:34], v[70:71]
	v_add_f64_e32 v[33:34], v[35:36], v[41:42]
	v_fma_f64 v[41:42], v[92:93], s[4:5], v[53:54]
	v_add_f64_e32 v[37:38], v[90:91], v[49:50]
	v_fma_f64 v[49:50], v[62:63], s[4:5], v[66:67]
	v_fma_f64 v[53:54], v[62:63], s[10:11], v[66:67]
	;; [unrolled: 1-line block ×4, first 2 shown]
	v_add_f64_e32 v[35:36], v[22:23], v[43:44]
	v_fma_f64 v[43:44], v[76:77], s[10:11], v[64:65]
	v_fma_f64 v[63:64], v[96:97], s[4:5], v[78:79]
	v_mul_u32_u24_e32 v22, 0x4bdb, v105
	v_mul_u32_u24_e32 v23, 0x6c0, v11
	v_fma_f64 v[65:66], v[98:99], s[4:5], v[82:83]
	v_fma_f64 v[67:68], v[100:101], s[10:11], v[86:87]
	v_add_f64_e32 v[39:40], v[39:40], v[51:52]
	v_fma_f64 v[51:52], v[60:61], s[10:11], v[72:73]
	v_fma_f64 v[59:60], v[96:97], s[10:11], v[78:79]
	;; [unrolled: 1-line block ×5, first 2 shown]
	v_lshrrev_b32_e32 v11, 19, v22
	v_mul_u32_u24_e32 v22, 0x6c0, v4
	v_and_b32_e32 v4, 0xff, v1
	v_lshlrev_b32_e32 v1, 4, v3
	v_mul_u32_u24_e32 v73, 0x6c0, v102
	v_lshlrev_b32_e32 v3, 4, v103
	v_lshlrev_b32_e32 v74, 4, v104
	;; [unrolled: 1-line block ×3, first 2 shown]
	v_add3_u32 v1, 0, v22, v1
	v_add3_u32 v2, 0, v23, v2
	v_add3_u32 v3, 0, v24, v3
	v_add3_u32 v22, 0, v73, v74
	ds_store_b128 v1, v[18:21]
	ds_store_b128 v1, v[41:44] offset:576
	ds_store_b128 v1, v[45:48] offset:1152
	ds_store_b128 v2, v[29:32]
	ds_store_b128 v2, v[49:52] offset:576
	ds_store_b128 v2, v[53:56] offset:1152
	;; [unrolled: 3-line block ×4, first 2 shown]
	global_wb scope:SCOPE_SE
	s_wait_dscnt 0x0
	s_barrier_signal -1
	s_barrier_wait -1
	global_inv scope:SCOPE_SE
	s_clause 0x1
	global_load_b128 v[18:21], v75, s[8:9] offset:1632
	global_load_b128 v[29:32], v75, s[8:9] offset:1648
	v_mul_lo_u16 v1, 0x6c, v11
	v_lshrrev_b16 v2, 2, v17
	v_mul_u32_u24_e32 v11, 0x1440, v11
	s_delay_alu instid0(VALU_DEP_3) | instskip(NEXT) | instid1(VALU_DEP_3)
	v_sub_nc_u16 v1, v12, v1
	v_and_b32_e32 v2, 0xffff, v2
	s_delay_alu instid0(VALU_DEP_2) | instskip(NEXT) | instid1(VALU_DEP_2)
	v_and_b32_e32 v3, 0xffff, v1
	v_mul_u32_u24_e32 v2, 0x4bdb, v2
	s_delay_alu instid0(VALU_DEP_2) | instskip(NEXT) | instid1(VALU_DEP_2)
	v_lshlrev_b32_e32 v1, 5, v3
	v_lshrrev_b32_e32 v24, 19, v2
	s_clause 0x1
	global_load_b128 v[33:36], v1, s[8:9] offset:1632
	global_load_b128 v[37:40], v1, s[8:9] offset:1648
	v_lshrrev_b16 v1, 2, v16
	v_mul_lo_u16 v2, 0x6c, v24
	s_delay_alu instid0(VALU_DEP_2) | instskip(NEXT) | instid1(VALU_DEP_2)
	v_and_b32_e32 v1, 0xffff, v1
	v_sub_nc_u16 v2, v17, v2
	s_delay_alu instid0(VALU_DEP_2) | instskip(NEXT) | instid1(VALU_DEP_2)
	v_mul_u32_u24_e32 v1, 0x4bdb, v1
	v_and_b32_e32 v103, 0xffff, v2
	s_delay_alu instid0(VALU_DEP_2) | instskip(NEXT) | instid1(VALU_DEP_2)
	v_lshrrev_b32_e32 v104, 19, v1
	v_lshlrev_b32_e32 v1, 5, v103
	s_clause 0x1
	global_load_b128 v[41:44], v1, s[8:9] offset:1632
	global_load_b128 v[45:48], v1, s[8:9] offset:1648
	v_mul_lo_u16 v2, 0x6c, v104
	s_delay_alu instid0(VALU_DEP_1) | instskip(NEXT) | instid1(VALU_DEP_1)
	v_sub_nc_u16 v1, v16, v2
	v_and_b32_e32 v105, 0xffff, v1
	s_delay_alu instid0(VALU_DEP_1)
	v_lshlrev_b32_e32 v1, 5, v105
	s_clause 0x1
	global_load_b128 v[49:52], v1, s[8:9] offset:1632
	global_load_b128 v[53:56], v1, s[8:9] offset:1648
	ds_load_b128 v[57:60], v25 offset:15552
	ds_load_b128 v[61:64], v25 offset:31104
	;; [unrolled: 1-line block ×5, first 2 shown]
	s_wait_loadcnt_dscnt 0x704
	v_mul_f64_e32 v[1:2], v[59:60], v[20:21]
	v_mul_f64_e32 v[77:78], v[57:58], v[20:21]
	s_wait_loadcnt_dscnt 0x603
	v_mul_f64_e32 v[79:80], v[63:64], v[31:32]
	v_mul_f64_e32 v[31:32], v[61:62], v[31:32]
	ds_load_b128 v[20:23], v26
	s_wait_loadcnt_dscnt 0x503
	v_mul_f64_e32 v[81:82], v[67:68], v[35:36]
	v_mul_f64_e32 v[35:36], v[65:66], v[35:36]
	v_fma_f64 v[1:2], v[57:58], v[18:19], -v[1:2]
	v_fma_f64 v[18:19], v[59:60], v[18:19], v[77:78]
	ds_load_b128 v[57:60], v25 offset:23328
	s_wait_loadcnt_dscnt 0x403
	v_mul_f64_e32 v[77:78], v[71:72], v[39:40]
	v_mul_f64_e32 v[39:40], v[69:70], v[39:40]
	v_fma_f64 v[79:80], v[61:62], v[29:30], -v[79:80]
	v_fma_f64 v[83:84], v[63:64], v[29:30], v[31:32]
	ds_load_b128 v[29:32], v25 offset:27216
	ds_load_b128 v[61:64], v25 offset:42768
	v_fma_f64 v[65:66], v[65:66], v[33:34], -v[81:82]
	v_fma_f64 v[67:68], v[67:68], v[33:34], v[35:36]
	s_wait_loadcnt_dscnt 0x302
	v_mul_f64_e32 v[33:34], v[59:60], v[43:44]
	v_mul_f64_e32 v[35:36], v[57:58], v[43:44]
	s_wait_loadcnt 0x2
	v_mul_f64_e32 v[43:44], v[75:76], v[47:48]
	v_mul_f64_e32 v[47:48], v[73:74], v[47:48]
	v_fma_f64 v[69:70], v[69:70], v[37:38], -v[77:78]
	v_fma_f64 v[71:72], v[71:72], v[37:38], v[39:40]
	s_wait_loadcnt_dscnt 0x101
	v_mul_f64_e32 v[37:38], v[31:32], v[51:52]
	s_wait_loadcnt_dscnt 0x0
	v_mul_f64_e32 v[39:40], v[63:64], v[55:56]
	v_mul_f64_e32 v[51:52], v[29:30], v[51:52]
	;; [unrolled: 1-line block ×3, first 2 shown]
	v_add_f64_e64 v[91:92], v[18:19], -v[83:84]
	v_add_f64_e64 v[93:94], v[1:2], -v[79:80]
	v_fma_f64 v[57:58], v[57:58], v[41:42], -v[33:34]
	v_fma_f64 v[41:42], v[59:60], v[41:42], v[35:36]
	v_fma_f64 v[43:44], v[73:74], v[45:46], -v[43:44]
	v_fma_f64 v[45:46], v[75:76], v[45:46], v[47:48]
	v_fma_f64 v[47:48], v[29:30], v[49:50], -v[37:38]
	v_fma_f64 v[59:60], v[61:62], v[53:54], -v[39:40]
	v_fma_f64 v[49:50], v[31:32], v[49:50], v[51:52]
	v_fma_f64 v[51:52], v[63:64], v[53:54], v[55:56]
	v_add_f64_e32 v[53:54], v[1:2], v[79:80]
	v_add_f64_e32 v[55:56], v[18:19], v[83:84]
	;; [unrolled: 1-line block ×4, first 2 shown]
	ds_load_b128 v[29:32], v25
	ds_load_b128 v[33:36], v5
	;; [unrolled: 1-line block ×3, first 2 shown]
	global_wb scope:SCOPE_SE
	s_wait_dscnt 0x0
	s_barrier_signal -1
	s_barrier_wait -1
	global_inv scope:SCOPE_SE
	v_add_f64_e32 v[73:74], v[57:58], v[43:44]
	v_add_f64_e32 v[75:76], v[41:42], v[45:46]
	v_add_f64_e64 v[95:96], v[41:42], -v[45:46]
	v_add_f64_e64 v[97:98], v[57:58], -v[43:44]
	v_add_f64_e32 v[85:86], v[29:30], v[1:2]
	v_add_f64_e32 v[87:88], v[31:32], v[18:19]
	v_dual_mov_b32 v2, 0 :: v_dual_lshlrev_b32 v1, 1, v10
	v_add_f64_e32 v[77:78], v[47:48], v[59:60]
	v_add_f64_e32 v[89:90], v[39:40], v[49:50]
	;; [unrolled: 1-line block ×3, first 2 shown]
	v_fma_f64 v[53:54], v[53:54], -0.5, v[29:30]
	v_fma_f64 v[55:56], v[55:56], -0.5, v[31:32]
	v_add_f64_e32 v[29:30], v[33:34], v[65:66]
	v_fma_f64 v[61:62], v[61:62], -0.5, v[33:34]
	v_add_f64_e32 v[33:34], v[20:21], v[57:58]
	v_add_f64_e32 v[31:32], v[35:36], v[67:68]
	v_fma_f64 v[63:64], v[63:64], -0.5, v[35:36]
	v_add_f64_e32 v[35:36], v[22:23], v[41:42]
	v_add_f64_e64 v[67:68], v[67:68], -v[71:72]
	v_add_f64_e64 v[65:66], v[65:66], -v[69:70]
	;; [unrolled: 1-line block ×4, first 2 shown]
	v_fma_f64 v[73:74], v[73:74], -0.5, v[20:21]
	v_fma_f64 v[22:23], v[75:76], -0.5, v[22:23]
	v_add_f64_e32 v[75:76], v[37:38], v[47:48]
	v_add_f64_e32 v[18:19], v[85:86], v[79:80]
	v_add_f64_e32 v[20:21], v[87:88], v[83:84]
	v_fma_f64 v[77:78], v[77:78], -0.5, v[37:38]
	v_fma_f64 v[81:82], v[81:82], -0.5, v[39:40]
	v_fma_f64 v[41:42], v[91:92], s[4:5], v[53:54]
	v_fma_f64 v[47:48], v[93:94], s[4:5], v[55:56]
	v_add_f64_e32 v[29:30], v[29:30], v[69:70]
	v_add_f64_e32 v[39:40], v[89:90], v[51:52]
	;; [unrolled: 1-line block ×3, first 2 shown]
	v_fma_f64 v[43:44], v[93:94], s[10:11], v[55:56]
	v_add_f64_e32 v[31:32], v[31:32], v[71:72]
	v_add_f64_e32 v[35:36], v[35:36], v[45:46]
	v_fma_f64 v[45:46], v[91:92], s[10:11], v[53:54]
	v_fma_f64 v[49:50], v[67:68], s[4:5], v[61:62]
	;; [unrolled: 1-line block ×7, first 2 shown]
	v_add_f64_e32 v[37:38], v[75:76], v[59:60]
	v_fma_f64 v[59:60], v[97:98], s[10:11], v[22:23]
	v_fma_f64 v[63:64], v[97:98], s[4:5], v[22:23]
	v_lshlrev_b64_e32 v[22:23], 4, v[1:2]
	v_mul_u32_u24_e32 v1, 0x1440, v13
	v_lshlrev_b32_e32 v74, 4, v4
	v_lshlrev_b32_e32 v75, 4, v3
	v_add_nc_u32_e32 v73, 0xffffffaf, v10
	v_mul_u32_u24_e32 v13, 0x1440, v24
	v_add_co_u32 v3, s0, s8, v22
	s_wait_alu 0xf1ff
	v_add_co_ci_u32_e64 v4, s0, s9, v23, s0
	v_mul_u32_u24_e32 v24, 0x1440, v104
	v_lshlrev_b32_e32 v76, 4, v103
	v_add3_u32 v1, 0, v1, v74
	v_fma_f64 v[65:66], v[99:100], s[4:5], v[77:78]
	v_fma_f64 v[69:70], v[99:100], s[10:11], v[77:78]
	;; [unrolled: 1-line block ×4, first 2 shown]
	v_lshlrev_b32_e32 v77, 4, v105
	v_cmp_gt_u32_e64 s0, 0x51, v10
	v_add3_u32 v11, 0, v11, v75
	v_add3_u32 v13, 0, v13, v76
	s_delay_alu instid0(VALU_DEP_4)
	v_add3_u32 v22, 0, v24, v77
	ds_store_b128 v1, v[18:21]
	ds_store_b128 v1, v[41:44] offset:1728
	ds_store_b128 v1, v[45:48] offset:3456
	ds_store_b128 v11, v[29:32]
	ds_store_b128 v11, v[49:52] offset:1728
	ds_store_b128 v11, v[53:56] offset:3456
	;; [unrolled: 3-line block ×4, first 2 shown]
	s_wait_alu 0xf1ff
	v_cndmask_b32_e64 v11, v73, v12, s0
	global_wb scope:SCOPE_SE
	s_wait_dscnt 0x0
	s_barrier_signal -1
	s_barrier_wait -1
	global_inv scope:SCOPE_SE
	s_clause 0x1
	global_load_b128 v[18:21], v[3:4], off offset:5088
	global_load_b128 v[29:32], v[3:4], off offset:5104
	v_lshlrev_b32_e32 v1, 1, v11
	s_delay_alu instid0(VALU_DEP_1) | instskip(SKIP_1) | instid1(VALU_DEP_2)
	v_lshlrev_b64_e32 v[22:23], 4, v[1:2]
	v_mul_u32_u24_e32 v1, 0x6523, v6
	v_add_co_u32 v22, s0, s8, v22
	s_wait_alu 0xf1ff
	s_delay_alu instid0(VALU_DEP_3) | instskip(NEXT) | instid1(VALU_DEP_3)
	v_add_co_ci_u32_e64 v23, s0, s9, v23, s0
	v_lshrrev_b32_e32 v1, 23, v1
	v_cmp_lt_u32_e64 s0, 0x50, v10
	s_clause 0x1
	global_load_b128 v[33:36], v[22:23], off offset:5088
	global_load_b128 v[37:40], v[22:23], off offset:5104
	v_mul_lo_u16 v6, 0x144, v1
	v_mul_u32_u24_e32 v1, 0x3cc0, v1
	s_delay_alu instid0(VALU_DEP_2) | instskip(NEXT) | instid1(VALU_DEP_1)
	v_sub_nc_u16 v6, v17, v6
	v_and_b32_e32 v13, 0xffff, v6
	v_lshrrev_b32_e32 v6, 23, v7
	s_delay_alu instid0(VALU_DEP_2) | instskip(NEXT) | instid1(VALU_DEP_2)
	v_lshlrev_b32_e32 v7, 5, v13
	v_mul_lo_u16 v6, 0x144, v6
	s_clause 0x1
	global_load_b128 v[41:44], v7, s[8:9] offset:5088
	global_load_b128 v[45:48], v7, s[8:9] offset:5104
	v_sub_nc_u16 v6, v16, v6
	s_delay_alu instid0(VALU_DEP_1) | instskip(NEXT) | instid1(VALU_DEP_1)
	v_and_b32_e32 v24, 0xffff, v6
	v_lshlrev_b32_e32 v6, 5, v24
	s_clause 0x1
	global_load_b128 v[49:52], v6, s[8:9] offset:5088
	global_load_b128 v[53:56], v6, s[8:9] offset:5104
	ds_load_b128 v[57:60], v25 offset:15552
	ds_load_b128 v[61:64], v25 offset:31104
	;; [unrolled: 1-line block ×5, first 2 shown]
	s_wait_loadcnt_dscnt 0x704
	v_mul_f64_e32 v[6:7], v[59:60], v[20:21]
	v_mul_f64_e32 v[77:78], v[57:58], v[20:21]
	s_wait_loadcnt_dscnt 0x603
	v_mul_f64_e32 v[79:80], v[63:64], v[31:32]
	v_mul_f64_e32 v[31:32], v[61:62], v[31:32]
	ds_load_b128 v[20:23], v26
	s_wait_loadcnt_dscnt 0x503
	v_mul_f64_e32 v[81:82], v[67:68], v[35:36]
	v_mul_f64_e32 v[35:36], v[65:66], v[35:36]
	s_wait_loadcnt_dscnt 0x402
	v_mul_f64_e32 v[83:84], v[71:72], v[39:40]
	v_mul_f64_e32 v[39:40], v[69:70], v[39:40]
	v_fma_f64 v[6:7], v[57:58], v[18:19], -v[6:7]
	v_fma_f64 v[18:19], v[59:60], v[18:19], v[77:78]
	ds_load_b128 v[57:60], v25 offset:23328
	v_fma_f64 v[77:78], v[61:62], v[29:30], -v[79:80]
	v_fma_f64 v[79:80], v[63:64], v[29:30], v[31:32]
	ds_load_b128 v[29:32], v25 offset:27216
	ds_load_b128 v[61:64], v25 offset:42768
	v_fma_f64 v[65:66], v[65:66], v[33:34], -v[81:82]
	v_fma_f64 v[67:68], v[67:68], v[33:34], v[35:36]
	s_wait_loadcnt_dscnt 0x302
	v_mul_f64_e32 v[85:86], v[59:60], v[43:44]
	v_mul_f64_e32 v[33:34], v[57:58], v[43:44]
	s_wait_loadcnt 0x2
	v_mul_f64_e32 v[43:44], v[73:74], v[47:48]
	v_mul_f64_e32 v[35:36], v[75:76], v[47:48]
	s_wait_loadcnt_dscnt 0x101
	v_mul_f64_e32 v[47:48], v[31:32], v[51:52]
	v_fma_f64 v[69:70], v[69:70], v[37:38], -v[83:84]
	v_fma_f64 v[71:72], v[71:72], v[37:38], v[39:40]
	s_wait_loadcnt_dscnt 0x0
	v_mul_f64_e32 v[37:38], v[63:64], v[55:56]
	v_mul_f64_e32 v[39:40], v[29:30], v[51:52]
	;; [unrolled: 1-line block ×3, first 2 shown]
	v_add_f64_e64 v[95:96], v[18:19], -v[79:80]
	v_fma_f64 v[55:56], v[57:58], v[41:42], -v[85:86]
	v_fma_f64 v[41:42], v[59:60], v[41:42], v[33:34]
	v_fma_f64 v[43:44], v[75:76], v[45:46], v[43:44]
	v_fma_f64 v[57:58], v[73:74], v[45:46], -v[35:36]
	v_fma_f64 v[45:46], v[29:30], v[49:50], -v[47:48]
	v_add_f64_e32 v[59:60], v[18:19], v[79:80]
	v_fma_f64 v[47:48], v[61:62], v[53:54], -v[37:38]
	v_fma_f64 v[49:50], v[31:32], v[49:50], v[39:40]
	v_fma_f64 v[51:52], v[63:64], v[53:54], v[51:52]
	v_add_f64_e32 v[53:54], v[6:7], v[77:78]
	v_add_f64_e32 v[63:64], v[67:68], v[71:72]
	;; [unrolled: 1-line block ×3, first 2 shown]
	ds_load_b128 v[29:32], v25
	ds_load_b128 v[33:36], v5
	;; [unrolled: 1-line block ×3, first 2 shown]
	global_wb scope:SCOPE_SE
	s_wait_dscnt 0x0
	s_barrier_signal -1
	s_barrier_wait -1
	global_inv scope:SCOPE_SE
	v_add_f64_e32 v[85:86], v[29:30], v[6:7]
	v_add_f64_e32 v[87:88], v[31:32], v[18:19]
	v_add_f64_e64 v[6:7], v[6:7], -v[77:78]
	v_add_f64_e32 v[89:90], v[33:34], v[65:66]
	v_add_f64_e64 v[65:66], v[65:66], -v[69:70]
	v_add_f64_e32 v[91:92], v[20:21], v[55:56]
	v_add_f64_e32 v[75:76], v[41:42], v[43:44]
	;; [unrolled: 1-line block ×4, first 2 shown]
	v_fma_f64 v[59:60], v[59:60], -0.5, v[31:32]
	v_add_f64_e32 v[31:32], v[35:36], v[67:68]
	v_add_f64_e32 v[81:82], v[45:46], v[47:48]
	v_add_f64_e64 v[67:68], v[67:68], -v[71:72]
	v_add_f64_e32 v[83:84], v[49:50], v[51:52]
	v_fma_f64 v[53:54], v[53:54], -0.5, v[29:30]
	v_fma_f64 v[63:64], v[63:64], -0.5, v[35:36]
	v_add_f64_e32 v[35:36], v[22:23], v[41:42]
	v_fma_f64 v[61:62], v[61:62], -0.5, v[33:34]
	v_add_f64_e64 v[97:98], v[41:42], -v[43:44]
	v_add_f64_e64 v[99:100], v[55:56], -v[57:58]
	;; [unrolled: 1-line block ×4, first 2 shown]
	v_add_f64_e32 v[18:19], v[85:86], v[77:78]
	v_add_f64_e32 v[29:30], v[89:90], v[69:70]
	;; [unrolled: 1-line block ×3, first 2 shown]
	v_fma_f64 v[22:23], v[75:76], -0.5, v[22:23]
	v_add_f64_e32 v[75:76], v[39:40], v[49:50]
	v_fma_f64 v[73:74], v[73:74], -0.5, v[20:21]
	v_add_f64_e32 v[20:21], v[87:88], v[79:80]
	v_add_f64_e32 v[31:32], v[31:32], v[71:72]
	v_fma_f64 v[81:82], v[81:82], -0.5, v[37:38]
	v_add_f64_e32 v[37:38], v[93:94], v[47:48]
	v_fma_f64 v[83:84], v[83:84], -0.5, v[39:40]
	v_fma_f64 v[41:42], v[95:96], s[4:5], v[53:54]
	v_fma_f64 v[45:46], v[95:96], s[10:11], v[53:54]
	v_add_f64_e32 v[35:36], v[35:36], v[43:44]
	v_fma_f64 v[43:44], v[6:7], s[10:11], v[59:60]
	v_fma_f64 v[47:48], v[6:7], s[4:5], v[59:60]
	;; [unrolled: 1-line block ×5, first 2 shown]
	s_wait_alu 0xf1ff
	v_cndmask_b32_e64 v6, 0, 0x3cc0, s0
	v_lshlrev_b32_e32 v7, 4, v11
	v_lshlrev_b32_e32 v11, 4, v13
	s_delay_alu instid0(VALU_DEP_2) | instskip(SKIP_1) | instid1(VALU_DEP_3)
	v_add3_u32 v6, 0, v6, v7
	v_lshl_add_u32 v7, v24, 4, 0
	v_add3_u32 v1, 0, v1, v11
	v_fma_f64 v[59:60], v[99:100], s[10:11], v[22:23]
	v_add_f64_e32 v[39:40], v[75:76], v[51:52]
	v_fma_f64 v[51:52], v[65:66], s[10:11], v[63:64]
	v_fma_f64 v[57:58], v[97:98], s[4:5], v[73:74]
	;; [unrolled: 1-line block ×8, first 2 shown]
	ds_store_b128 v25, v[18:21]
	ds_store_b128 v25, v[41:44] offset:5184
	ds_store_b128 v25, v[45:48] offset:10368
	ds_store_b128 v6, v[29:32]
	ds_store_b128 v6, v[49:52] offset:5184
	ds_store_b128 v6, v[53:56] offset:10368
	;; [unrolled: 3-line block ×3, first 2 shown]
	ds_store_b128 v7, v[37:40] offset:31104
	ds_store_b128 v7, v[65:68] offset:36288
	;; [unrolled: 1-line block ×3, first 2 shown]
	global_wb scope:SCOPE_SE
	s_wait_dscnt 0x0
	s_barrier_signal -1
	s_barrier_wait -1
	global_inv scope:SCOPE_SE
	s_clause 0x1
	global_load_b128 v[18:21], v[3:4], off offset:15456
	global_load_b128 v[29:32], v[3:4], off offset:15472
	v_lshlrev_b32_e32 v1, 1, v12
	s_delay_alu instid0(VALU_DEP_1) | instskip(SKIP_1) | instid1(VALU_DEP_2)
	v_lshlrev_b64_e32 v[6:7], 4, v[1:2]
	v_lshlrev_b32_e32 v1, 1, v17
	v_add_co_u32 v3, s0, s8, v6
	s_wait_alu 0xf1ff
	s_delay_alu instid0(VALU_DEP_3) | instskip(NEXT) | instid1(VALU_DEP_3)
	v_add_co_ci_u32_e64 v4, s0, s9, v7, s0
	v_lshlrev_b64_e32 v[6:7], 4, v[1:2]
	v_lshlrev_b32_e32 v1, 1, v16
	global_load_b128 v[33:36], v[3:4], off offset:15456
	v_add_co_u32 v6, s0, s8, v6
	s_wait_alu 0xf1ff
	v_add_co_ci_u32_e64 v7, s0, s9, v7, s0
	s_clause 0x1
	global_load_b128 v[37:40], v[3:4], off offset:15472
	global_load_b128 v[41:44], v[6:7], off offset:15456
	v_lshlrev_b64_e32 v[22:23], 4, v[1:2]
	s_delay_alu instid0(VALU_DEP_1) | instskip(SKIP_1) | instid1(VALU_DEP_2)
	v_add_co_u32 v3, s0, s8, v22
	s_wait_alu 0xf1ff
	v_add_co_ci_u32_e64 v4, s0, s9, v23, s0
	s_clause 0x2
	global_load_b128 v[45:48], v[6:7], off offset:15472
	global_load_b128 v[49:52], v[3:4], off offset:15456
	;; [unrolled: 1-line block ×3, first 2 shown]
	ds_load_b128 v[57:60], v25 offset:15552
	ds_load_b128 v[61:64], v25 offset:31104
	;; [unrolled: 1-line block ×3, first 2 shown]
	s_wait_loadcnt_dscnt 0x702
	v_mul_f64_e32 v[3:4], v[59:60], v[20:21]
	v_mul_f64_e32 v[6:7], v[57:58], v[20:21]
	ds_load_b128 v[20:23], v26
	ds_load_b128 v[69:72], v25 offset:34992
	ds_load_b128 v[73:76], v25 offset:23328
	ds_load_b128 v[77:80], v25 offset:38880
	ds_load_b128 v[81:84], v25 offset:27216
	s_wait_loadcnt_dscnt 0x606
	v_mul_f64_e32 v[85:86], v[63:64], v[31:32]
	v_mul_f64_e32 v[31:32], v[61:62], v[31:32]
	s_wait_loadcnt_dscnt 0x505
	v_mul_f64_e32 v[87:88], v[67:68], v[35:36]
	v_mul_f64_e32 v[35:36], v[65:66], v[35:36]
	v_fma_f64 v[3:4], v[57:58], v[18:19], -v[3:4]
	v_fma_f64 v[6:7], v[59:60], v[18:19], v[6:7]
	s_wait_loadcnt_dscnt 0x403
	v_mul_f64_e32 v[18:19], v[71:72], v[39:40]
	v_mul_f64_e32 v[39:40], v[69:70], v[39:40]
	ds_load_b128 v[57:60], v25 offset:42768
	v_fma_f64 v[61:62], v[61:62], v[29:30], -v[85:86]
	v_fma_f64 v[63:64], v[63:64], v[29:30], v[31:32]
	s_wait_loadcnt_dscnt 0x303
	v_mul_f64_e32 v[29:30], v[75:76], v[43:44]
	v_mul_f64_e32 v[31:32], v[73:74], v[43:44]
	s_wait_loadcnt_dscnt 0x202
	v_mul_f64_e32 v[43:44], v[79:80], v[47:48]
	v_mul_f64_e32 v[47:48], v[77:78], v[47:48]
	v_fma_f64 v[65:66], v[65:66], v[33:34], -v[87:88]
	v_fma_f64 v[67:68], v[67:68], v[33:34], v[35:36]
	s_wait_loadcnt_dscnt 0x101
	v_mul_f64_e32 v[33:34], v[83:84], v[51:52]
	v_mul_f64_e32 v[51:52], v[81:82], v[51:52]
	v_fma_f64 v[69:70], v[69:70], v[37:38], -v[18:19]
	v_fma_f64 v[71:72], v[71:72], v[37:38], v[39:40]
	ds_load_b128 v[37:40], v28
	s_wait_loadcnt_dscnt 0x1
	v_mul_f64_e32 v[35:36], v[59:60], v[55:56]
	v_mul_f64_e32 v[55:56], v[57:58], v[55:56]
	v_fma_f64 v[18:19], v[73:74], v[41:42], -v[29:30]
	v_fma_f64 v[41:42], v[75:76], v[41:42], v[31:32]
	v_fma_f64 v[43:44], v[77:78], v[45:46], -v[43:44]
	v_fma_f64 v[45:46], v[79:80], v[45:46], v[47:48]
	ds_load_b128 v[29:32], v25
	v_fma_f64 v[47:48], v[81:82], v[49:50], -v[33:34]
	v_fma_f64 v[49:50], v[83:84], v[49:50], v[51:52]
	v_add_f64_e32 v[73:74], v[67:68], v[71:72]
	v_fma_f64 v[57:58], v[57:58], v[53:54], -v[35:36]
	ds_load_b128 v[33:36], v5
	v_fma_f64 v[51:52], v[59:60], v[53:54], v[55:56]
	v_add_f64_e32 v[53:54], v[3:4], v[61:62]
	v_add_f64_e32 v[55:56], v[6:7], v[63:64]
	;; [unrolled: 1-line block ×5, first 2 shown]
	s_wait_dscnt 0x1
	v_add_f64_e32 v[83:84], v[29:30], v[3:4]
	v_add_f64_e32 v[85:86], v[31:32], v[6:7]
	;; [unrolled: 1-line block ×3, first 2 shown]
	v_add_f64_e64 v[6:7], v[6:7], -v[63:64]
	v_add_f64_e64 v[3:4], v[3:4], -v[61:62]
	v_add_f64_e32 v[93:94], v[22:23], v[41:42]
	v_add_f64_e64 v[99:100], v[41:42], -v[45:46]
	v_add_f64_e64 v[101:102], v[18:19], -v[43:44]
	global_wb scope:SCOPE_SE
	s_wait_dscnt 0x0
	v_add_f64_e32 v[95:96], v[37:38], v[47:48]
	v_add_f64_e32 v[97:98], v[39:40], v[49:50]
	s_barrier_signal -1
	s_barrier_wait -1
	v_add_f64_e32 v[87:88], v[33:34], v[65:66]
	v_add_f64_e32 v[89:90], v[35:36], v[67:68]
	v_add_f64_e64 v[67:68], v[67:68], -v[71:72]
	v_add_f64_e64 v[65:66], v[65:66], -v[69:70]
	global_inv scope:SCOPE_SE
	v_fma_f64 v[73:74], v[73:74], -0.5, v[35:36]
	v_add_f64_e32 v[79:80], v[47:48], v[57:58]
	v_add_f64_e64 v[103:104], v[47:48], -v[57:58]
	v_add_f64_e32 v[81:82], v[49:50], v[51:52]
	v_fma_f64 v[53:54], v[53:54], -0.5, v[29:30]
	v_fma_f64 v[55:56], v[55:56], -0.5, v[31:32]
	;; [unrolled: 1-line block ×5, first 2 shown]
	v_add_f64_e64 v[77:78], v[49:50], -v[51:52]
	v_add_f64_e32 v[18:19], v[83:84], v[61:62]
	v_add_f64_e32 v[20:21], v[85:86], v[63:64]
	;; [unrolled: 1-line block ×6, first 2 shown]
	v_fma_f64 v[79:80], v[79:80], -0.5, v[37:38]
	v_add_f64_e32 v[37:38], v[95:96], v[57:58]
	v_fma_f64 v[81:82], v[81:82], -0.5, v[39:40]
	v_fma_f64 v[41:42], v[6:7], s[4:5], v[53:54]
	v_fma_f64 v[43:44], v[3:4], s[10:11], v[55:56]
	;; [unrolled: 1-line block ×4, first 2 shown]
	v_add_f64_e32 v[39:40], v[97:98], v[51:52]
	v_fma_f64 v[49:50], v[67:68], s[4:5], v[59:60]
	v_fma_f64 v[51:52], v[65:66], s[10:11], v[73:74]
	v_fma_f64 v[53:54], v[67:68], s[10:11], v[59:60]
	v_fma_f64 v[55:56], v[65:66], s[4:5], v[73:74]
	v_fma_f64 v[57:58], v[99:100], s[4:5], v[75:76]
	v_fma_f64 v[59:60], v[101:102], s[10:11], v[22:23]
	v_fma_f64 v[61:62], v[99:100], s[10:11], v[75:76]
	v_fma_f64 v[63:64], v[101:102], s[4:5], v[22:23]
                                        ; implicit-def: $vgpr23_vgpr24
	v_fma_f64 v[65:66], v[77:78], s[4:5], v[79:80]
	v_fma_f64 v[69:70], v[77:78], s[10:11], v[79:80]
	v_fma_f64 v[67:68], v[103:104], s[10:11], v[81:82]
	v_fma_f64 v[71:72], v[103:104], s[4:5], v[81:82]
	ds_store_b128 v25, v[18:21]
	ds_store_b128 v25, v[41:44] offset:15552
	ds_store_b128 v25, v[45:48] offset:31104
	ds_store_b128 v5, v[29:32]
	ds_store_b128 v5, v[49:52] offset:15552
	ds_store_b128 v5, v[53:56] offset:31104
	ds_store_b128 v26, v[33:36]
	ds_store_b128 v26, v[57:60] offset:15552
	ds_store_b128 v26, v[61:64] offset:31104
	ds_store_b128 v28, v[37:40]
	ds_store_b128 v28, v[65:68] offset:15552
	ds_store_b128 v28, v[69:72] offset:31104
	global_wb scope:SCOPE_SE
	s_wait_dscnt 0x0
	s_barrier_signal -1
	s_barrier_wait -1
	global_inv scope:SCOPE_SE
	ds_load_b128 v[4:7], v25
	v_sub_nc_u32_e32 v29, 0, v0
                                        ; implicit-def: $vgpr0_vgpr1
                                        ; implicit-def: $vgpr21_vgpr22
                                        ; implicit-def: $vgpr19_vgpr20
	v_cmpx_ne_u32_e32 0, v10
	s_xor_b32 s1, exec_lo, s1
	s_cbranch_execz .LBB0_15
; %bb.14:
	v_mov_b32_e32 v11, v2
	s_delay_alu instid0(VALU_DEP_1) | instskip(NEXT) | instid1(VALU_DEP_1)
	v_lshlrev_b64_e32 v[0:1], 4, v[10:11]
	v_add_co_u32 v0, s0, s8, v0
	s_wait_alu 0xf1ff
	s_delay_alu instid0(VALU_DEP_2)
	v_add_co_ci_u32_e64 v1, s0, s9, v1, s0
	global_load_b128 v[18:21], v[0:1], off offset:46560
	ds_load_b128 v[0:3], v29 offset:46656
	s_wait_dscnt 0x0
	v_add_f64_e64 v[22:23], v[4:5], -v[0:1]
	v_add_f64_e32 v[30:31], v[6:7], v[2:3]
	v_add_f64_e64 v[2:3], v[6:7], -v[2:3]
	v_add_f64_e32 v[0:1], v[4:5], v[0:1]
	s_delay_alu instid0(VALU_DEP_4) | instskip(NEXT) | instid1(VALU_DEP_4)
	v_mul_f64_e32 v[6:7], 0.5, v[22:23]
	v_mul_f64_e32 v[4:5], 0.5, v[30:31]
	s_delay_alu instid0(VALU_DEP_4) | instskip(SKIP_1) | instid1(VALU_DEP_3)
	v_mul_f64_e32 v[2:3], 0.5, v[2:3]
	s_wait_loadcnt 0x0
	v_mul_f64_e32 v[22:23], v[6:7], v[20:21]
	s_delay_alu instid0(VALU_DEP_2) | instskip(SKIP_1) | instid1(VALU_DEP_3)
	v_fma_f64 v[30:31], v[4:5], v[20:21], v[2:3]
	v_fma_f64 v[2:3], v[4:5], v[20:21], -v[2:3]
	v_fma_f64 v[32:33], v[0:1], 0.5, v[22:23]
	v_fma_f64 v[0:1], v[0:1], 0.5, -v[22:23]
	s_delay_alu instid0(VALU_DEP_4) | instskip(NEXT) | instid1(VALU_DEP_4)
	v_fma_f64 v[23:24], -v[18:19], v[6:7], v[30:31]
	v_fma_f64 v[2:3], -v[18:19], v[6:7], v[2:3]
	s_delay_alu instid0(VALU_DEP_4) | instskip(NEXT) | instid1(VALU_DEP_4)
	v_fma_f64 v[21:22], v[4:5], v[18:19], v[32:33]
	v_fma_f64 v[0:1], -v[4:5], v[18:19], v[0:1]
	v_dual_mov_b32 v20, v11 :: v_dual_mov_b32 v19, v10
                                        ; implicit-def: $vgpr4_vgpr5
.LBB0_15:
	s_wait_alu 0xfffe
	s_or_saveexec_b32 s0, s1
	v_mul_i32_i24_e32 v11, 0xffffffb0, v12
	s_wait_alu 0xfffe
	s_xor_b32 exec_lo, exec_lo, s0
	s_cbranch_execz .LBB0_17
; %bb.16:
	s_wait_dscnt 0x0
	v_add_f64_e32 v[21:22], v[4:5], v[6:7]
	v_add_f64_e64 v[0:1], v[4:5], -v[6:7]
	v_dual_mov_b32 v6, 0 :: v_dual_mov_b32 v23, 0
	v_dual_mov_b32 v24, 0 :: v_dual_mov_b32 v19, 0
	s_delay_alu instid0(VALU_DEP_2)
	v_mov_b32_e32 v2, v23
	ds_load_b64 v[4:5], v6 offset:23336
	v_dual_mov_b32 v20, 0 :: v_dual_mov_b32 v3, v24
	s_wait_dscnt 0x0
	v_xor_b32_e32 v5, 0x80000000, v5
	ds_store_b64 v6, v[4:5] offset:23336
.LBB0_17:
	s_or_b32 exec_lo, exec_lo, s0
	v_mov_b32_e32 v13, 0
	v_add_nc_u32_e32 v27, v27, v11
	s_wait_dscnt 0x0
	s_delay_alu instid0(VALU_DEP_2) | instskip(SKIP_1) | instid1(VALU_DEP_1)
	v_lshlrev_b64_e32 v[4:5], 4, v[12:13]
	v_mov_b32_e32 v18, v13
	v_lshlrev_b64_e32 v[17:18], 4, v[17:18]
	s_delay_alu instid0(VALU_DEP_3) | instskip(SKIP_1) | instid1(VALU_DEP_4)
	v_add_co_u32 v4, s0, s8, v4
	s_wait_alu 0xf1ff
	v_add_co_ci_u32_e64 v5, s0, s9, v5, s0
	s_delay_alu instid0(VALU_DEP_3)
	v_add_co_u32 v17, s0, s8, v17
	global_load_b128 v[4:7], v[4:5], off offset:46560
	s_wait_alu 0xf1ff
	v_add_co_ci_u32_e64 v18, s0, s9, v18, s0
	global_load_b128 v[30:33], v[17:18], off offset:46560
	ds_store_2addr_b64 v25, v[21:22], v[23:24] offset1:1
	ds_store_b128 v29, v[0:3] offset:46656
	ds_load_b128 v[0:3], v27
	ds_load_b128 v[21:24], v29 offset:42768
	s_wait_dscnt 0x0
	v_add_f64_e64 v[11:12], v[0:1], -v[21:22]
	v_add_f64_e32 v[17:18], v[2:3], v[23:24]
	v_add_f64_e64 v[2:3], v[2:3], -v[23:24]
	v_add_f64_e32 v[0:1], v[0:1], v[21:22]
	s_delay_alu instid0(VALU_DEP_4) | instskip(NEXT) | instid1(VALU_DEP_4)
	v_mul_f64_e32 v[11:12], 0.5, v[11:12]
	v_mul_f64_e32 v[17:18], 0.5, v[17:18]
	s_delay_alu instid0(VALU_DEP_4) | instskip(SKIP_1) | instid1(VALU_DEP_3)
	v_mul_f64_e32 v[2:3], 0.5, v[2:3]
	s_wait_loadcnt 0x1
	v_mul_f64_e32 v[21:22], v[11:12], v[6:7]
	s_delay_alu instid0(VALU_DEP_2) | instskip(SKIP_1) | instid1(VALU_DEP_3)
	v_fma_f64 v[23:24], v[17:18], v[6:7], v[2:3]
	v_fma_f64 v[2:3], v[17:18], v[6:7], -v[2:3]
	v_fma_f64 v[6:7], v[0:1], 0.5, v[21:22]
	v_fma_f64 v[0:1], v[0:1], 0.5, -v[21:22]
	s_delay_alu instid0(VALU_DEP_4) | instskip(NEXT) | instid1(VALU_DEP_4)
	v_fma_f64 v[21:22], -v[4:5], v[11:12], v[23:24]
	v_fma_f64 v[11:12], -v[4:5], v[11:12], v[2:3]
	s_delay_alu instid0(VALU_DEP_4) | instskip(NEXT) | instid1(VALU_DEP_4)
	v_fma_f64 v[6:7], v[17:18], v[4:5], v[6:7]
	v_fma_f64 v[4:5], -v[17:18], v[4:5], v[0:1]
	v_mov_b32_e32 v17, v13
	s_delay_alu instid0(VALU_DEP_1) | instskip(NEXT) | instid1(VALU_DEP_1)
	v_lshlrev_b64_e32 v[0:1], 4, v[16:17]
	v_add_co_u32 v0, s0, s8, v0
	s_wait_alu 0xf1ff
	s_delay_alu instid0(VALU_DEP_2)
	v_add_co_ci_u32_e64 v1, s0, s9, v1, s0
	s_add_nc_u64 s[0:1], s[8:9], 0xb5e0
	global_load_b128 v[0:3], v[0:1], off offset:46560
	ds_store_b64 v27, v[21:22] offset:8
	ds_store_b64 v29, v[11:12] offset:42776
	ds_store_b64 v27, v[6:7]
	ds_store_b64 v29, v[4:5] offset:42768
	ds_load_b128 v[4:7], v26
	ds_load_b128 v[21:24], v29 offset:38880
	s_wait_dscnt 0x0
	v_add_f64_e64 v[11:12], v[4:5], -v[21:22]
	v_add_f64_e32 v[16:17], v[6:7], v[23:24]
	v_add_f64_e64 v[6:7], v[6:7], -v[23:24]
	v_add_f64_e32 v[4:5], v[4:5], v[21:22]
	s_delay_alu instid0(VALU_DEP_4) | instskip(NEXT) | instid1(VALU_DEP_4)
	v_mul_f64_e32 v[11:12], 0.5, v[11:12]
	v_mul_f64_e32 v[16:17], 0.5, v[16:17]
	s_delay_alu instid0(VALU_DEP_4) | instskip(SKIP_1) | instid1(VALU_DEP_3)
	v_mul_f64_e32 v[6:7], 0.5, v[6:7]
	s_wait_loadcnt 0x1
	v_mul_f64_e32 v[21:22], v[11:12], v[32:33]
	s_delay_alu instid0(VALU_DEP_2) | instskip(SKIP_1) | instid1(VALU_DEP_3)
	v_fma_f64 v[23:24], v[16:17], v[32:33], v[6:7]
	v_fma_f64 v[6:7], v[16:17], v[32:33], -v[6:7]
	v_fma_f64 v[32:33], v[4:5], 0.5, v[21:22]
	v_fma_f64 v[4:5], v[4:5], 0.5, -v[21:22]
	s_delay_alu instid0(VALU_DEP_4) | instskip(NEXT) | instid1(VALU_DEP_4)
	v_fma_f64 v[21:22], -v[30:31], v[11:12], v[23:24]
	v_fma_f64 v[6:7], -v[30:31], v[11:12], v[6:7]
	s_delay_alu instid0(VALU_DEP_4) | instskip(NEXT) | instid1(VALU_DEP_4)
	v_fma_f64 v[11:12], v[16:17], v[30:31], v[32:33]
	v_fma_f64 v[4:5], -v[16:17], v[30:31], v[4:5]
	v_lshlrev_b64_e32 v[16:17], 4, v[19:20]
	s_wait_alu 0xfffe
	s_delay_alu instid0(VALU_DEP_1) | instskip(SKIP_1) | instid1(VALU_DEP_2)
	v_add_co_u32 v30, s0, s0, v16
	s_wait_alu 0xf1ff
	v_add_co_ci_u32_e64 v31, s0, s1, v17, s0
	global_load_b128 v[16:19], v[30:31], off offset:15552
	ds_store_2addr_b64 v26, v[11:12], v[21:22] offset1:1
	ds_store_b128 v29, v[4:7] offset:38880
	ds_load_b128 v[4:7], v28
	ds_load_b128 v[20:23], v29 offset:34992
	s_wait_dscnt 0x0
	v_add_f64_e64 v[11:12], v[4:5], -v[20:21]
	v_add_f64_e32 v[26:27], v[6:7], v[22:23]
	v_add_f64_e64 v[6:7], v[6:7], -v[22:23]
	v_add_f64_e32 v[4:5], v[4:5], v[20:21]
	s_delay_alu instid0(VALU_DEP_4) | instskip(NEXT) | instid1(VALU_DEP_4)
	v_mul_f64_e32 v[11:12], 0.5, v[11:12]
	v_mul_f64_e32 v[22:23], 0.5, v[26:27]
	s_delay_alu instid0(VALU_DEP_4) | instskip(SKIP_1) | instid1(VALU_DEP_3)
	v_mul_f64_e32 v[6:7], 0.5, v[6:7]
	s_wait_loadcnt 0x1
	v_mul_f64_e32 v[20:21], v[11:12], v[2:3]
	s_delay_alu instid0(VALU_DEP_2) | instskip(SKIP_1) | instid1(VALU_DEP_3)
	v_fma_f64 v[26:27], v[22:23], v[2:3], v[6:7]
	v_fma_f64 v[2:3], v[22:23], v[2:3], -v[6:7]
	v_fma_f64 v[6:7], v[4:5], 0.5, v[20:21]
	v_fma_f64 v[4:5], v[4:5], 0.5, -v[20:21]
	s_delay_alu instid0(VALU_DEP_4) | instskip(NEXT) | instid1(VALU_DEP_4)
	v_fma_f64 v[20:21], -v[0:1], v[11:12], v[26:27]
	v_fma_f64 v[2:3], -v[0:1], v[11:12], v[2:3]
	s_delay_alu instid0(VALU_DEP_4) | instskip(NEXT) | instid1(VALU_DEP_4)
	v_fma_f64 v[11:12], v[22:23], v[0:1], v[6:7]
	v_fma_f64 v[0:1], -v[22:23], v[0:1], v[4:5]
	global_load_b128 v[4:7], v[30:31], off offset:19440
	ds_store_2addr_b64 v28, v[11:12], v[20:21] offset1:1
	ds_store_b128 v29, v[0:3] offset:34992
	ds_load_b128 v[0:3], v25 offset:15552
	ds_load_b128 v[20:23], v29 offset:31104
	s_wait_dscnt 0x0
	v_add_f64_e64 v[11:12], v[0:1], -v[20:21]
	v_add_f64_e32 v[26:27], v[2:3], v[22:23]
	v_add_f64_e64 v[2:3], v[2:3], -v[22:23]
	v_add_f64_e32 v[0:1], v[0:1], v[20:21]
	s_delay_alu instid0(VALU_DEP_4) | instskip(NEXT) | instid1(VALU_DEP_4)
	v_mul_f64_e32 v[11:12], 0.5, v[11:12]
	v_mul_f64_e32 v[22:23], 0.5, v[26:27]
	s_delay_alu instid0(VALU_DEP_4) | instskip(SKIP_1) | instid1(VALU_DEP_3)
	v_mul_f64_e32 v[2:3], 0.5, v[2:3]
	s_wait_loadcnt 0x1
	v_mul_f64_e32 v[20:21], v[11:12], v[18:19]
	s_delay_alu instid0(VALU_DEP_2) | instskip(SKIP_1) | instid1(VALU_DEP_3)
	v_fma_f64 v[26:27], v[22:23], v[18:19], v[2:3]
	v_fma_f64 v[2:3], v[22:23], v[18:19], -v[2:3]
	v_fma_f64 v[18:19], v[0:1], 0.5, v[20:21]
	v_fma_f64 v[0:1], v[0:1], 0.5, -v[20:21]
	s_delay_alu instid0(VALU_DEP_4) | instskip(NEXT) | instid1(VALU_DEP_4)
	v_fma_f64 v[20:21], -v[16:17], v[11:12], v[26:27]
	v_fma_f64 v[2:3], -v[16:17], v[11:12], v[2:3]
	s_delay_alu instid0(VALU_DEP_4) | instskip(NEXT) | instid1(VALU_DEP_4)
	v_fma_f64 v[11:12], v[22:23], v[16:17], v[18:19]
	v_fma_f64 v[0:1], -v[22:23], v[16:17], v[0:1]
	v_add_nc_u32_e32 v16, 0x3800, v25
	ds_store_2addr_b64 v16, v[11:12], v[20:21] offset0:152 offset1:153
	ds_store_b128 v29, v[0:3] offset:31104
	ds_load_b128 v[0:3], v25 offset:19440
	ds_load_b128 v[16:19], v29 offset:27216
	s_wait_dscnt 0x0
	v_add_f64_e64 v[11:12], v[0:1], -v[16:17]
	v_add_f64_e32 v[20:21], v[2:3], v[18:19]
	v_add_f64_e64 v[2:3], v[2:3], -v[18:19]
	v_add_f64_e32 v[0:1], v[0:1], v[16:17]
	s_delay_alu instid0(VALU_DEP_4) | instskip(NEXT) | instid1(VALU_DEP_4)
	v_mul_f64_e32 v[11:12], 0.5, v[11:12]
	v_mul_f64_e32 v[18:19], 0.5, v[20:21]
	s_delay_alu instid0(VALU_DEP_4) | instskip(SKIP_1) | instid1(VALU_DEP_3)
	v_mul_f64_e32 v[2:3], 0.5, v[2:3]
	s_wait_loadcnt 0x0
	v_mul_f64_e32 v[16:17], v[11:12], v[6:7]
	s_delay_alu instid0(VALU_DEP_2) | instskip(SKIP_1) | instid1(VALU_DEP_3)
	v_fma_f64 v[20:21], v[18:19], v[6:7], v[2:3]
	v_fma_f64 v[2:3], v[18:19], v[6:7], -v[2:3]
	v_fma_f64 v[6:7], v[0:1], 0.5, v[16:17]
	v_fma_f64 v[0:1], v[0:1], 0.5, -v[16:17]
	s_delay_alu instid0(VALU_DEP_4) | instskip(NEXT) | instid1(VALU_DEP_4)
	v_fma_f64 v[16:17], -v[4:5], v[11:12], v[20:21]
	v_fma_f64 v[2:3], -v[4:5], v[11:12], v[2:3]
	s_delay_alu instid0(VALU_DEP_4) | instskip(NEXT) | instid1(VALU_DEP_4)
	v_fma_f64 v[6:7], v[18:19], v[4:5], v[6:7]
	v_fma_f64 v[0:1], -v[18:19], v[4:5], v[0:1]
	v_add_nc_u32_e32 v4, 0x4800, v25
	ds_store_2addr_b64 v4, v[6:7], v[16:17] offset0:126 offset1:127
	ds_store_b128 v29, v[0:3] offset:27216
	global_wb scope:SCOPE_SE
	s_wait_dscnt 0x0
	s_barrier_signal -1
	s_barrier_wait -1
	global_inv scope:SCOPE_SE
	s_and_saveexec_b32 s0, vcc_lo
	s_cbranch_execz .LBB0_20
; %bb.18:
	v_mul_lo_u32 v2, s3, v14
	v_mul_lo_u32 v3, s2, v15
	v_mad_co_u64_u32 v[0:1], null, s2, v14, 0
	v_dual_mov_b32 v11, v13 :: v_dual_add_nc_u32 v12, 0xf3, v10
	v_lshlrev_b64_e32 v[18:19], 4, v[8:9]
	v_lshl_add_u32 v36, v10, 4, 0
	s_delay_alu instid0(VALU_DEP_3)
	v_lshlrev_b64_e32 v[20:21], 4, v[10:11]
	v_add3_u32 v1, v1, v3, v2
	v_lshlrev_b64_e32 v[22:23], 4, v[12:13]
	v_add_nc_u32_e32 v12, 0x1e6, v10
	ds_load_b128 v[2:5], v36
	ds_load_b128 v[6:9], v36 offset:3888
	ds_load_b128 v[14:17], v36 offset:7776
	v_lshlrev_b64_e32 v[0:1], 4, v[0:1]
	v_lshlrev_b64_e32 v[24:25], 4, v[12:13]
	v_add_nc_u32_e32 v12, 0x2d9, v10
	s_delay_alu instid0(VALU_DEP_3) | instskip(SKIP_1) | instid1(VALU_DEP_4)
	v_add_co_u32 v0, vcc_lo, s6, v0
	s_wait_alu 0xfffd
	v_add_co_ci_u32_e32 v1, vcc_lo, s7, v1, vcc_lo
	s_delay_alu instid0(VALU_DEP_2) | instskip(SKIP_1) | instid1(VALU_DEP_2)
	v_add_co_u32 v0, vcc_lo, v0, v18
	s_wait_alu 0xfffd
	v_add_co_ci_u32_e32 v1, vcc_lo, v1, v19, vcc_lo
	s_delay_alu instid0(VALU_DEP_2) | instskip(SKIP_1) | instid1(VALU_DEP_2)
	v_add_co_u32 v26, vcc_lo, v0, v20
	s_wait_alu 0xfffd
	v_add_co_ci_u32_e32 v27, vcc_lo, v1, v21, vcc_lo
	ds_load_b128 v[18:21], v36 offset:11664
	v_add_co_u32 v28, vcc_lo, v0, v22
	s_wait_alu 0xfffd
	v_add_co_ci_u32_e32 v29, vcc_lo, v1, v23, vcc_lo
	v_lshlrev_b64_e32 v[22:23], 4, v[12:13]
	v_add_nc_u32_e32 v12, 0x3cc, v10
	v_add_co_u32 v30, vcc_lo, v0, v24
	s_wait_alu 0xfffd
	v_add_co_ci_u32_e32 v31, vcc_lo, v1, v25, vcc_lo
	s_delay_alu instid0(VALU_DEP_4)
	v_add_co_u32 v32, vcc_lo, v0, v22
	v_lshlrev_b64_e32 v[34:35], 4, v[12:13]
	v_add_nc_u32_e32 v12, 0x4bf, v10
	s_wait_alu 0xfffd
	v_add_co_ci_u32_e32 v33, vcc_lo, v1, v23, vcc_lo
	ds_load_b128 v[22:25], v36 offset:42768
	s_wait_dscnt 0x4
	global_store_b128 v[26:27], v[2:5], off
	s_wait_dscnt 0x3
	global_store_b128 v[28:29], v[6:9], off
	v_lshlrev_b64_e32 v[26:27], 4, v[12:13]
	v_add_nc_u32_e32 v12, 0x5b2, v10
	ds_load_b128 v[2:5], v36 offset:15552
	s_wait_dscnt 0x3
	global_store_b128 v[30:31], v[14:17], off
	s_wait_dscnt 0x2
	global_store_b128 v[32:33], v[18:21], off
	ds_load_b128 v[6:9], v36 offset:19440
	ds_load_b128 v[14:17], v36 offset:23328
	;; [unrolled: 1-line block ×3, first 2 shown]
	v_lshlrev_b64_e32 v[30:31], 4, v[12:13]
	v_add_nc_u32_e32 v12, 0x6a5, v10
	v_add_co_u32 v28, vcc_lo, v0, v34
	s_wait_alu 0xfffd
	v_add_co_ci_u32_e32 v29, vcc_lo, v1, v35, vcc_lo
	v_add_co_u32 v26, vcc_lo, v0, v26
	v_lshlrev_b64_e32 v[32:33], 4, v[12:13]
	s_wait_alu 0xfffd
	v_add_co_ci_u32_e32 v27, vcc_lo, v1, v27, vcc_lo
	v_add_nc_u32_e32 v12, 0x798, v10
	v_add_co_u32 v30, vcc_lo, v0, v30
	s_wait_alu 0xfffd
	v_add_co_ci_u32_e32 v31, vcc_lo, v1, v31, vcc_lo
	v_add_co_u32 v32, vcc_lo, v0, v32
	v_lshlrev_b64_e32 v[34:35], 4, v[12:13]
	v_add_nc_u32_e32 v12, 0x88b, v10
	s_wait_alu 0xfffd
	v_add_co_ci_u32_e32 v33, vcc_lo, v1, v33, vcc_lo
	s_wait_dscnt 0x3
	global_store_b128 v[28:29], v[2:5], off
	s_wait_dscnt 0x2
	global_store_b128 v[26:27], v[6:9], off
	ds_load_b128 v[2:5], v36 offset:31104
	s_wait_dscnt 0x2
	global_store_b128 v[30:31], v[14:17], off
	s_wait_dscnt 0x1
	global_store_b128 v[32:33], v[18:21], off
	v_lshlrev_b64_e32 v[18:19], 4, v[12:13]
	v_add_nc_u32_e32 v12, 0x97e, v10
	ds_load_b128 v[6:9], v36 offset:34992
	ds_load_b128 v[14:17], v36 offset:38880
	v_add_co_u32 v20, vcc_lo, v0, v34
	s_wait_alu 0xfffd
	v_add_co_ci_u32_e32 v21, vcc_lo, v1, v35, vcc_lo
	v_lshlrev_b64_e32 v[26:27], 4, v[12:13]
	v_add_nc_u32_e32 v12, 0xa71, v10
	v_add_co_u32 v18, vcc_lo, v0, v18
	s_wait_alu 0xfffd
	v_add_co_ci_u32_e32 v19, vcc_lo, v1, v19, vcc_lo
	s_delay_alu instid0(VALU_DEP_3) | instskip(SKIP_3) | instid1(VALU_DEP_3)
	v_lshlrev_b64_e32 v[11:12], 4, v[12:13]
	v_add_co_u32 v26, vcc_lo, v0, v26
	s_wait_alu 0xfffd
	v_add_co_ci_u32_e32 v27, vcc_lo, v1, v27, vcc_lo
	v_add_co_u32 v11, vcc_lo, v0, v11
	s_wait_alu 0xfffd
	v_add_co_ci_u32_e32 v12, vcc_lo, v1, v12, vcc_lo
	v_cmp_eq_u32_e32 vcc_lo, 0xf2, v10
	s_wait_dscnt 0x2
	global_store_b128 v[20:21], v[2:5], off
	s_wait_dscnt 0x1
	global_store_b128 v[18:19], v[6:9], off
	s_wait_dscnt 0x0
	s_clause 0x1
	global_store_b128 v[26:27], v[14:17], off
	global_store_b128 v[11:12], v[22:25], off
	s_and_b32 exec_lo, exec_lo, vcc_lo
	s_cbranch_execz .LBB0_20
; %bb.19:
	v_mov_b32_e32 v2, 0
	ds_load_b128 v[2:5], v2 offset:46656
	s_wait_dscnt 0x0
	global_store_b128 v[0:1], v[2:5], off offset:46656
.LBB0_20:
	s_nop 0
	s_sendmsg sendmsg(MSG_DEALLOC_VGPRS)
	s_endpgm
	.section	.rodata,"a",@progbits
	.p2align	6, 0x0
	.amdhsa_kernel fft_rtc_fwd_len2916_factors_6_6_3_3_3_3_wgs_243_tpt_243_halfLds_dp_op_CI_CI_unitstride_sbrr_R2C_dirReg
		.amdhsa_group_segment_fixed_size 0
		.amdhsa_private_segment_fixed_size 0
		.amdhsa_kernarg_size 104
		.amdhsa_user_sgpr_count 2
		.amdhsa_user_sgpr_dispatch_ptr 0
		.amdhsa_user_sgpr_queue_ptr 0
		.amdhsa_user_sgpr_kernarg_segment_ptr 1
		.amdhsa_user_sgpr_dispatch_id 0
		.amdhsa_user_sgpr_private_segment_size 0
		.amdhsa_wavefront_size32 1
		.amdhsa_uses_dynamic_stack 0
		.amdhsa_enable_private_segment 0
		.amdhsa_system_sgpr_workgroup_id_x 1
		.amdhsa_system_sgpr_workgroup_id_y 0
		.amdhsa_system_sgpr_workgroup_id_z 0
		.amdhsa_system_sgpr_workgroup_info 0
		.amdhsa_system_vgpr_workitem_id 0
		.amdhsa_next_free_vgpr 106
		.amdhsa_next_free_sgpr 39
		.amdhsa_reserve_vcc 1
		.amdhsa_float_round_mode_32 0
		.amdhsa_float_round_mode_16_64 0
		.amdhsa_float_denorm_mode_32 3
		.amdhsa_float_denorm_mode_16_64 3
		.amdhsa_fp16_overflow 0
		.amdhsa_workgroup_processor_mode 1
		.amdhsa_memory_ordered 1
		.amdhsa_forward_progress 0
		.amdhsa_round_robin_scheduling 0
		.amdhsa_exception_fp_ieee_invalid_op 0
		.amdhsa_exception_fp_denorm_src 0
		.amdhsa_exception_fp_ieee_div_zero 0
		.amdhsa_exception_fp_ieee_overflow 0
		.amdhsa_exception_fp_ieee_underflow 0
		.amdhsa_exception_fp_ieee_inexact 0
		.amdhsa_exception_int_div_zero 0
	.end_amdhsa_kernel
	.text
.Lfunc_end0:
	.size	fft_rtc_fwd_len2916_factors_6_6_3_3_3_3_wgs_243_tpt_243_halfLds_dp_op_CI_CI_unitstride_sbrr_R2C_dirReg, .Lfunc_end0-fft_rtc_fwd_len2916_factors_6_6_3_3_3_3_wgs_243_tpt_243_halfLds_dp_op_CI_CI_unitstride_sbrr_R2C_dirReg
                                        ; -- End function
	.section	.AMDGPU.csdata,"",@progbits
; Kernel info:
; codeLenInByte = 11380
; NumSgprs: 41
; NumVgprs: 106
; ScratchSize: 0
; MemoryBound: 0
; FloatMode: 240
; IeeeMode: 1
; LDSByteSize: 0 bytes/workgroup (compile time only)
; SGPRBlocks: 5
; VGPRBlocks: 13
; NumSGPRsForWavesPerEU: 41
; NumVGPRsForWavesPerEU: 106
; Occupancy: 12
; WaveLimiterHint : 1
; COMPUTE_PGM_RSRC2:SCRATCH_EN: 0
; COMPUTE_PGM_RSRC2:USER_SGPR: 2
; COMPUTE_PGM_RSRC2:TRAP_HANDLER: 0
; COMPUTE_PGM_RSRC2:TGID_X_EN: 1
; COMPUTE_PGM_RSRC2:TGID_Y_EN: 0
; COMPUTE_PGM_RSRC2:TGID_Z_EN: 0
; COMPUTE_PGM_RSRC2:TIDIG_COMP_CNT: 0
	.text
	.p2alignl 7, 3214868480
	.fill 96, 4, 3214868480
	.type	__hip_cuid_6efe6853a8c0e399,@object ; @__hip_cuid_6efe6853a8c0e399
	.section	.bss,"aw",@nobits
	.globl	__hip_cuid_6efe6853a8c0e399
__hip_cuid_6efe6853a8c0e399:
	.byte	0                               ; 0x0
	.size	__hip_cuid_6efe6853a8c0e399, 1

	.ident	"AMD clang version 19.0.0git (https://github.com/RadeonOpenCompute/llvm-project roc-6.4.0 25133 c7fe45cf4b819c5991fe208aaa96edf142730f1d)"
	.section	".note.GNU-stack","",@progbits
	.addrsig
	.addrsig_sym __hip_cuid_6efe6853a8c0e399
	.amdgpu_metadata
---
amdhsa.kernels:
  - .args:
      - .actual_access:  read_only
        .address_space:  global
        .offset:         0
        .size:           8
        .value_kind:     global_buffer
      - .offset:         8
        .size:           8
        .value_kind:     by_value
      - .actual_access:  read_only
        .address_space:  global
        .offset:         16
        .size:           8
        .value_kind:     global_buffer
      - .actual_access:  read_only
        .address_space:  global
        .offset:         24
        .size:           8
        .value_kind:     global_buffer
      - .actual_access:  read_only
        .address_space:  global
        .offset:         32
        .size:           8
        .value_kind:     global_buffer
      - .offset:         40
        .size:           8
        .value_kind:     by_value
      - .actual_access:  read_only
        .address_space:  global
        .offset:         48
        .size:           8
        .value_kind:     global_buffer
      - .actual_access:  read_only
        .address_space:  global
        .offset:         56
        .size:           8
        .value_kind:     global_buffer
      - .offset:         64
        .size:           4
        .value_kind:     by_value
      - .actual_access:  read_only
        .address_space:  global
        .offset:         72
        .size:           8
        .value_kind:     global_buffer
      - .actual_access:  read_only
        .address_space:  global
        .offset:         80
        .size:           8
        .value_kind:     global_buffer
      - .actual_access:  read_only
        .address_space:  global
        .offset:         88
        .size:           8
        .value_kind:     global_buffer
      - .actual_access:  write_only
        .address_space:  global
        .offset:         96
        .size:           8
        .value_kind:     global_buffer
    .group_segment_fixed_size: 0
    .kernarg_segment_align: 8
    .kernarg_segment_size: 104
    .language:       OpenCL C
    .language_version:
      - 2
      - 0
    .max_flat_workgroup_size: 243
    .name:           fft_rtc_fwd_len2916_factors_6_6_3_3_3_3_wgs_243_tpt_243_halfLds_dp_op_CI_CI_unitstride_sbrr_R2C_dirReg
    .private_segment_fixed_size: 0
    .sgpr_count:     41
    .sgpr_spill_count: 0
    .symbol:         fft_rtc_fwd_len2916_factors_6_6_3_3_3_3_wgs_243_tpt_243_halfLds_dp_op_CI_CI_unitstride_sbrr_R2C_dirReg.kd
    .uniform_work_group_size: 1
    .uses_dynamic_stack: false
    .vgpr_count:     106
    .vgpr_spill_count: 0
    .wavefront_size: 32
    .workgroup_processor_mode: 1
amdhsa.target:   amdgcn-amd-amdhsa--gfx1201
amdhsa.version:
  - 1
  - 2
...

	.end_amdgpu_metadata
